;; amdgpu-corpus repo=ROCm/rocFFT kind=compiled arch=gfx906 opt=O3
	.text
	.amdgcn_target "amdgcn-amd-amdhsa--gfx906"
	.amdhsa_code_object_version 6
	.protected	fft_rtc_back_len1445_factors_17_5_17_wgs_85_tpt_85_halfLds_half_ip_CI_sbrr_dirReg ; -- Begin function fft_rtc_back_len1445_factors_17_5_17_wgs_85_tpt_85_halfLds_half_ip_CI_sbrr_dirReg
	.globl	fft_rtc_back_len1445_factors_17_5_17_wgs_85_tpt_85_halfLds_half_ip_CI_sbrr_dirReg
	.p2align	8
	.type	fft_rtc_back_len1445_factors_17_5_17_wgs_85_tpt_85_halfLds_half_ip_CI_sbrr_dirReg,@function
fft_rtc_back_len1445_factors_17_5_17_wgs_85_tpt_85_halfLds_half_ip_CI_sbrr_dirReg: ; @fft_rtc_back_len1445_factors_17_5_17_wgs_85_tpt_85_halfLds_half_ip_CI_sbrr_dirReg
; %bb.0:
	s_load_dwordx2 s[14:15], s[4:5], 0x18
	s_load_dwordx4 s[8:11], s[4:5], 0x0
	s_load_dwordx2 s[12:13], s[4:5], 0x50
	v_mul_u32_u24_e32 v1, 0x304, v0
	v_add_u32_sdwa v5, s6, v1 dst_sel:DWORD dst_unused:UNUSED_PAD src0_sel:DWORD src1_sel:WORD_1
	s_waitcnt lgkmcnt(0)
	s_load_dwordx2 s[2:3], s[14:15], 0x0
	v_cmp_lt_u64_e64 s[0:1], s[10:11], 2
	v_mov_b32_e32 v3, 0
	v_mov_b32_e32 v1, 0
	;; [unrolled: 1-line block ×3, first 2 shown]
	s_and_b64 vcc, exec, s[0:1]
	v_mov_b32_e32 v2, 0
	s_cbranch_vccnz .LBB0_8
; %bb.1:
	s_load_dwordx2 s[0:1], s[4:5], 0x10
	s_add_u32 s6, s14, 8
	s_addc_u32 s7, s15, 0
	v_mov_b32_e32 v1, 0
	v_mov_b32_e32 v2, 0
	s_waitcnt lgkmcnt(0)
	s_add_u32 s16, s0, 8
	s_addc_u32 s17, s1, 0
	s_mov_b64 s[18:19], 1
.LBB0_2:                                ; =>This Inner Loop Header: Depth=1
	s_load_dwordx2 s[20:21], s[16:17], 0x0
                                        ; implicit-def: $vgpr7_vgpr8
	s_waitcnt lgkmcnt(0)
	v_or_b32_e32 v4, s21, v6
	v_cmp_ne_u64_e32 vcc, 0, v[3:4]
	s_and_saveexec_b64 s[0:1], vcc
	s_xor_b64 s[22:23], exec, s[0:1]
	s_cbranch_execz .LBB0_4
; %bb.3:                                ;   in Loop: Header=BB0_2 Depth=1
	v_cvt_f32_u32_e32 v4, s20
	v_cvt_f32_u32_e32 v7, s21
	s_sub_u32 s0, 0, s20
	s_subb_u32 s1, 0, s21
	v_mac_f32_e32 v4, 0x4f800000, v7
	v_rcp_f32_e32 v4, v4
	v_mul_f32_e32 v4, 0x5f7ffffc, v4
	v_mul_f32_e32 v7, 0x2f800000, v4
	v_trunc_f32_e32 v7, v7
	v_mac_f32_e32 v4, 0xcf800000, v7
	v_cvt_u32_f32_e32 v7, v7
	v_cvt_u32_f32_e32 v4, v4
	v_mul_lo_u32 v8, s0, v7
	v_mul_hi_u32 v9, s0, v4
	v_mul_lo_u32 v11, s1, v4
	v_mul_lo_u32 v10, s0, v4
	v_add_u32_e32 v8, v9, v8
	v_add_u32_e32 v8, v8, v11
	v_mul_hi_u32 v9, v4, v10
	v_mul_lo_u32 v11, v4, v8
	v_mul_hi_u32 v13, v4, v8
	v_mul_hi_u32 v12, v7, v10
	v_mul_lo_u32 v10, v7, v10
	v_mul_hi_u32 v14, v7, v8
	v_add_co_u32_e32 v9, vcc, v9, v11
	v_addc_co_u32_e32 v11, vcc, 0, v13, vcc
	v_mul_lo_u32 v8, v7, v8
	v_add_co_u32_e32 v9, vcc, v9, v10
	v_addc_co_u32_e32 v9, vcc, v11, v12, vcc
	v_addc_co_u32_e32 v10, vcc, 0, v14, vcc
	v_add_co_u32_e32 v8, vcc, v9, v8
	v_addc_co_u32_e32 v9, vcc, 0, v10, vcc
	v_add_co_u32_e32 v4, vcc, v4, v8
	v_addc_co_u32_e32 v7, vcc, v7, v9, vcc
	v_mul_lo_u32 v8, s0, v7
	v_mul_hi_u32 v9, s0, v4
	v_mul_lo_u32 v10, s1, v4
	v_mul_lo_u32 v11, s0, v4
	v_add_u32_e32 v8, v9, v8
	v_add_u32_e32 v8, v8, v10
	v_mul_lo_u32 v12, v4, v8
	v_mul_hi_u32 v13, v4, v11
	v_mul_hi_u32 v14, v4, v8
	;; [unrolled: 1-line block ×3, first 2 shown]
	v_mul_lo_u32 v11, v7, v11
	v_mul_hi_u32 v9, v7, v8
	v_add_co_u32_e32 v12, vcc, v13, v12
	v_addc_co_u32_e32 v13, vcc, 0, v14, vcc
	v_mul_lo_u32 v8, v7, v8
	v_add_co_u32_e32 v11, vcc, v12, v11
	v_addc_co_u32_e32 v10, vcc, v13, v10, vcc
	v_addc_co_u32_e32 v9, vcc, 0, v9, vcc
	v_add_co_u32_e32 v8, vcc, v10, v8
	v_addc_co_u32_e32 v9, vcc, 0, v9, vcc
	v_add_co_u32_e32 v4, vcc, v4, v8
	v_addc_co_u32_e32 v9, vcc, v7, v9, vcc
	v_mad_u64_u32 v[7:8], s[0:1], v5, v9, 0
	v_mul_hi_u32 v10, v5, v4
	v_add_co_u32_e32 v11, vcc, v10, v7
	v_addc_co_u32_e32 v12, vcc, 0, v8, vcc
	v_mad_u64_u32 v[7:8], s[0:1], v6, v4, 0
	v_mad_u64_u32 v[9:10], s[0:1], v6, v9, 0
	v_add_co_u32_e32 v4, vcc, v11, v7
	v_addc_co_u32_e32 v4, vcc, v12, v8, vcc
	v_addc_co_u32_e32 v7, vcc, 0, v10, vcc
	v_add_co_u32_e32 v4, vcc, v4, v9
	v_addc_co_u32_e32 v9, vcc, 0, v7, vcc
	v_mul_lo_u32 v10, s21, v4
	v_mul_lo_u32 v11, s20, v9
	v_mad_u64_u32 v[7:8], s[0:1], s20, v4, 0
	v_add3_u32 v8, v8, v11, v10
	v_sub_u32_e32 v10, v6, v8
	v_mov_b32_e32 v11, s21
	v_sub_co_u32_e32 v7, vcc, v5, v7
	v_subb_co_u32_e64 v10, s[0:1], v10, v11, vcc
	v_subrev_co_u32_e64 v11, s[0:1], s20, v7
	v_subbrev_co_u32_e64 v10, s[0:1], 0, v10, s[0:1]
	v_cmp_le_u32_e64 s[0:1], s21, v10
	v_cndmask_b32_e64 v12, 0, -1, s[0:1]
	v_cmp_le_u32_e64 s[0:1], s20, v11
	v_cndmask_b32_e64 v11, 0, -1, s[0:1]
	v_cmp_eq_u32_e64 s[0:1], s21, v10
	v_cndmask_b32_e64 v10, v12, v11, s[0:1]
	v_add_co_u32_e64 v11, s[0:1], 2, v4
	v_addc_co_u32_e64 v12, s[0:1], 0, v9, s[0:1]
	v_add_co_u32_e64 v13, s[0:1], 1, v4
	v_addc_co_u32_e64 v14, s[0:1], 0, v9, s[0:1]
	v_subb_co_u32_e32 v8, vcc, v6, v8, vcc
	v_cmp_ne_u32_e64 s[0:1], 0, v10
	v_cmp_le_u32_e32 vcc, s21, v8
	v_cndmask_b32_e64 v10, v14, v12, s[0:1]
	v_cndmask_b32_e64 v12, 0, -1, vcc
	v_cmp_le_u32_e32 vcc, s20, v7
	v_cndmask_b32_e64 v7, 0, -1, vcc
	v_cmp_eq_u32_e32 vcc, s21, v8
	v_cndmask_b32_e32 v7, v12, v7, vcc
	v_cmp_ne_u32_e32 vcc, 0, v7
	v_cndmask_b32_e64 v7, v13, v11, s[0:1]
	v_cndmask_b32_e32 v8, v9, v10, vcc
	v_cndmask_b32_e32 v7, v4, v7, vcc
.LBB0_4:                                ;   in Loop: Header=BB0_2 Depth=1
	s_andn2_saveexec_b64 s[0:1], s[22:23]
	s_cbranch_execz .LBB0_6
; %bb.5:                                ;   in Loop: Header=BB0_2 Depth=1
	v_cvt_f32_u32_e32 v4, s20
	s_sub_i32 s22, 0, s20
	v_rcp_iflag_f32_e32 v4, v4
	v_mul_f32_e32 v4, 0x4f7ffffe, v4
	v_cvt_u32_f32_e32 v4, v4
	v_mul_lo_u32 v7, s22, v4
	v_mul_hi_u32 v7, v4, v7
	v_add_u32_e32 v4, v4, v7
	v_mul_hi_u32 v4, v5, v4
	v_mul_lo_u32 v7, v4, s20
	v_add_u32_e32 v8, 1, v4
	v_sub_u32_e32 v7, v5, v7
	v_subrev_u32_e32 v9, s20, v7
	v_cmp_le_u32_e32 vcc, s20, v7
	v_cndmask_b32_e32 v7, v7, v9, vcc
	v_cndmask_b32_e32 v4, v4, v8, vcc
	v_add_u32_e32 v8, 1, v4
	v_cmp_le_u32_e32 vcc, s20, v7
	v_cndmask_b32_e32 v7, v4, v8, vcc
	v_mov_b32_e32 v8, v3
.LBB0_6:                                ;   in Loop: Header=BB0_2 Depth=1
	s_or_b64 exec, exec, s[0:1]
	v_mul_lo_u32 v4, v8, s20
	v_mul_lo_u32 v11, v7, s21
	v_mad_u64_u32 v[9:10], s[0:1], v7, s20, 0
	s_load_dwordx2 s[0:1], s[6:7], 0x0
	s_add_u32 s18, s18, 1
	v_add3_u32 v4, v10, v11, v4
	v_sub_co_u32_e32 v5, vcc, v5, v9
	v_subb_co_u32_e32 v4, vcc, v6, v4, vcc
	s_waitcnt lgkmcnt(0)
	v_mul_lo_u32 v4, s0, v4
	v_mul_lo_u32 v6, s1, v5
	v_mad_u64_u32 v[1:2], s[0:1], s0, v5, v[1:2]
	s_addc_u32 s19, s19, 0
	s_add_u32 s6, s6, 8
	v_add3_u32 v2, v6, v2, v4
	v_mov_b32_e32 v4, s10
	v_mov_b32_e32 v5, s11
	s_addc_u32 s7, s7, 0
	v_cmp_ge_u64_e32 vcc, s[18:19], v[4:5]
	s_add_u32 s16, s16, 8
	s_addc_u32 s17, s17, 0
	s_cbranch_vccnz .LBB0_9
; %bb.7:                                ;   in Loop: Header=BB0_2 Depth=1
	v_mov_b32_e32 v5, v7
	v_mov_b32_e32 v6, v8
	s_branch .LBB0_2
.LBB0_8:
	v_mov_b32_e32 v8, v6
	v_mov_b32_e32 v7, v5
.LBB0_9:
	s_lshl_b64 s[0:1], s[10:11], 3
	s_add_u32 s0, s14, s0
	s_addc_u32 s1, s15, s1
	s_load_dwordx2 s[6:7], s[0:1], 0x0
	s_load_dwordx2 s[10:11], s[4:5], 0x20
                                        ; implicit-def: $vgpr10
                                        ; implicit-def: $vgpr9
	s_waitcnt lgkmcnt(0)
	v_mad_u64_u32 v[1:2], s[0:1], s6, v7, v[1:2]
	s_mov_b32 s0, 0x3030304
	v_mul_lo_u32 v3, s6, v8
	v_mul_lo_u32 v4, s7, v7
	v_mul_hi_u32 v5, v0, s0
	v_cmp_gt_u64_e32 vcc, s[10:11], v[7:8]
	v_cmp_le_u64_e64 s[0:1], s[10:11], v[7:8]
	v_add3_u32 v2, v4, v2, v3
	v_mul_u32_u24_e32 v3, 0x55, v5
	v_sub_u32_e32 v7, v0, v3
                                        ; implicit-def: $sgpr6
                                        ; implicit-def: $vgpr8
	s_and_saveexec_b64 s[4:5], s[0:1]
	s_xor_b64 s[0:1], exec, s[4:5]
; %bb.10:
	v_add_u32_e32 v10, 0x55, v7
	v_add_u32_e32 v9, 0xaa, v7
	;; [unrolled: 1-line block ×3, first 2 shown]
	s_mov_b32 s6, 0
; %bb.11:
	s_or_saveexec_b64 s[4:5], s[0:1]
	v_lshlrev_b64 v[4:5], 2, v[1:2]
	v_mov_b32_e32 v6, s6
	v_mov_b32_e32 v0, s6
                                        ; implicit-def: $vgpr24
                                        ; implicit-def: $vgpr1
                                        ; implicit-def: $vgpr26
                                        ; implicit-def: $vgpr2
                                        ; implicit-def: $vgpr28
                                        ; implicit-def: $vgpr3
                                        ; implicit-def: $vgpr30
                                        ; implicit-def: $vgpr15
                                        ; implicit-def: $vgpr32
                                        ; implicit-def: $vgpr16
                                        ; implicit-def: $vgpr33
                                        ; implicit-def: $vgpr17
                                        ; implicit-def: $vgpr34
                                        ; implicit-def: $vgpr18
                                        ; implicit-def: $vgpr35
                                        ; implicit-def: $vgpr20
                                        ; implicit-def: $vgpr42
                                        ; implicit-def: $vgpr37
                                        ; implicit-def: $vgpr41
                                        ; implicit-def: $vgpr23
                                        ; implicit-def: $vgpr40
                                        ; implicit-def: $vgpr22
                                        ; implicit-def: $vgpr39
                                        ; implicit-def: $vgpr21
                                        ; implicit-def: $vgpr38
                                        ; implicit-def: $vgpr31
                                        ; implicit-def: $vgpr46
                                        ; implicit-def: $vgpr29
                                        ; implicit-def: $vgpr44
                                        ; implicit-def: $vgpr27
                                        ; implicit-def: $vgpr43
                                        ; implicit-def: $vgpr25
	s_xor_b64 exec, exec, s[4:5]
	s_cbranch_execz .LBB0_13
; %bb.12:
	v_mad_u64_u32 v[11:12], s[0:1], s2, v7, 0
	v_add_u32_e32 v10, 0x55, v7
	v_add_u32_e32 v9, 0xaa, v7
	v_mov_b32_e32 v0, v12
	v_mad_u64_u32 v[0:1], s[0:1], s3, v7, v[0:1]
	v_mad_u64_u32 v[1:2], s[0:1], s2, v10, 0
	v_mov_b32_e32 v12, v0
	v_mad_u64_u32 v[13:14], s[0:1], s2, v9, 0
	v_mov_b32_e32 v0, v2
	;; [unrolled: 2-line block ×3, first 2 shown]
	v_add_co_u32_e64 v49, s[0:1], s12, v4
	v_lshlrev_b64 v[0:1], 2, v[1:2]
	v_mov_b32_e32 v2, v14
	v_add_u32_e32 v8, 0xff, v7
	v_addc_co_u32_e64 v6, s[0:1], v6, v5, s[0:1]
	v_mad_u64_u32 v[2:3], s[0:1], s3, v9, v[2:3]
	v_mad_u64_u32 v[15:16], s[0:1], s2, v8, 0
	v_add_co_u32_e64 v19, s[0:1], v49, v0
	v_mov_b32_e32 v14, v2
	v_mov_b32_e32 v2, v16
	v_addc_co_u32_e64 v20, s[0:1], v6, v1, s[0:1]
	v_mad_u64_u32 v[2:3], s[0:1], s3, v8, v[2:3]
	v_add_u32_e32 v3, 0x154, v7
	v_lshlrev_b64 v[0:1], 2, v[13:14]
	v_mad_u64_u32 v[13:14], s[0:1], s2, v3, 0
	v_add_co_u32_e64 v21, s[0:1], v49, v0
	v_mov_b32_e32 v16, v2
	v_mov_b32_e32 v2, v14
	v_addc_co_u32_e64 v22, s[0:1], v6, v1, s[0:1]
	v_mad_u64_u32 v[2:3], s[0:1], s3, v3, v[2:3]
	v_add_u32_e32 v3, 0x1a9, v7
	v_lshlrev_b64 v[0:1], 2, v[15:16]
	;; [unrolled: 8-line block ×11, first 2 shown]
	v_mad_u64_u32 v[13:14], s[0:1], s2, v3, 0
	v_add_co_u32_e64 v41, s[0:1], v49, v0
	v_mov_b32_e32 v16, v2
	v_mov_b32_e32 v2, v14
	v_addc_co_u32_e64 v42, s[0:1], v6, v1, s[0:1]
	v_mad_u64_u32 v[2:3], s[0:1], s3, v3, v[2:3]
	v_lshlrev_b64 v[0:1], 2, v[15:16]
	v_lshlrev_b64 v[11:12], 2, v[11:12]
	v_add_co_u32_e64 v43, s[0:1], v49, v0
	v_mov_b32_e32 v14, v2
	v_add_u32_e32 v2, 0x4fb, v7
	v_addc_co_u32_e64 v44, s[0:1], v6, v1, s[0:1]
	v_lshlrev_b64 v[0:1], 2, v[13:14]
	v_mad_u64_u32 v[13:14], s[0:1], s2, v2, 0
	v_add_co_u32_e64 v45, s[0:1], v49, v0
	v_mov_b32_e32 v0, v14
	v_addc_co_u32_e64 v46, s[0:1], v6, v1, s[0:1]
	v_mad_u64_u32 v[0:1], s[0:1], s3, v2, v[0:1]
	global_load_dword v1, v[19:20], off
	global_load_dword v2, v[21:22], off
	;; [unrolled: 1-line block ×7, first 2 shown]
	v_add_u32_e32 v19, 0x550, v7
	v_mad_u64_u32 v[47:48], s[0:1], s2, v19, 0
	v_mov_b32_e32 v14, v0
	v_lshlrev_b64 v[13:14], 2, v[13:14]
	v_mov_b32_e32 v0, v48
	v_add_co_u32_e64 v13, s[0:1], v49, v13
	v_addc_co_u32_e64 v14, s[0:1], v6, v14, s[0:1]
	s_waitcnt vmcnt(6)
	v_mad_u64_u32 v[19:20], s[0:1], s3, v19, v[0:1]
	global_load_dword v20, v[33:34], off
	global_load_dword v25, v[35:36], off
	;; [unrolled: 1-line block ×8, first 2 shown]
	v_lshrrev_b32_e32 v24, 16, v1
	v_mov_b32_e32 v48, v19
	v_lshlrev_b64 v[13:14], 2, v[47:48]
	s_waitcnt vmcnt(13)
	v_lshrrev_b32_e32 v26, 16, v2
	v_add_co_u32_e64 v13, s[0:1], v49, v13
	v_addc_co_u32_e64 v14, s[0:1], v6, v14, s[0:1]
	v_add_co_u32_e64 v11, s[0:1], v49, v11
	global_load_dword v37, v[13:14], off
	v_addc_co_u32_e64 v12, s[0:1], v6, v12, s[0:1]
	global_load_dword v0, v[11:12], off
	s_waitcnt vmcnt(14)
	v_lshrrev_b32_e32 v28, 16, v3
	s_waitcnt vmcnt(13)
	v_lshrrev_b32_e32 v30, 16, v15
	;; [unrolled: 2-line block ×5, first 2 shown]
	v_mov_b32_e32 v6, v7
	s_waitcnt vmcnt(9)
	v_lshrrev_b32_e32 v35, 16, v20
	s_waitcnt vmcnt(8)
	v_lshrrev_b32_e32 v43, 16, v25
	;; [unrolled: 2-line block ×9, first 2 shown]
.LBB0_13:
	s_or_b64 exec, exec, s[4:5]
	v_sub_f16_e32 v14, v24, v42
	s_mov_b32 s1, 0xb964b5c8
	v_add_f16_e32 v19, v1, v37
	v_sub_f16_e32 v45, v26, v41
	s_mov_b32 s0, 0x39e93b76
	v_pk_mul_f16 v47, v14, s1 op_sel_hi:[0,1]
	s_mov_b32 s4, 0xbbf7b964
	v_add_f16_e32 v36, v2, v23
	v_pk_fma_f16 v11, v19, s0, v47 op_sel_hi:[0,1,1]
	s_mov_b32 s1, 0x2de839e9
	v_pk_mul_f16 v48, v45, s4 op_sel_hi:[0,1]
	s_mov_b32 s5, 0xba62bb29
	v_sub_f16_e32 v50, v28, v40
	s_waitcnt vmcnt(0)
	v_pk_add_f16 v11, v11, v0 op_sel_hi:[1,0]
	v_pk_fma_f16 v12, v36, s1, v48 op_sel_hi:[0,1,1]
	s_mov_b32 s4, 0xb8d23722
	v_add_f16_e32 v49, v3, v22
	v_pk_mul_f16 v51, v50, s5 op_sel_hi:[0,1]
	s_mov_b32 s6, 0xb1e1bbf7
	v_sub_f16_e32 v53, v30, v39
	v_pk_add_f16 v11, v12, v11
	v_pk_fma_f16 v12, v49, s4, v51 op_sel_hi:[0,1,1]
	s_mov_b32 s5, 0xbbdd2de8
	v_add_f16_e32 v52, v15, v21
	v_pk_mul_f16 v54, v53, s6 op_sel_hi:[0,1]
	s_mov_b32 s6, 0x3836bbb2
	v_sub_f16_e32 v56, v32, v38
	v_pk_add_f16 v11, v12, v11
	;; [unrolled: 7-line block ×4, first 2 shown]
	v_pk_fma_f16 v12, v58, s60, v60 op_sel_hi:[0,1,1]
	s_mov_b32 s61, 0x3722bacd
	v_add_f16_e32 v61, v18, v27
	v_pk_mul_f16 v63, v62, s6 op_sel_hi:[0,1]
	s_mov_b32 s30, 0xbbf7bb29
	v_pk_add_f16 v11, v12, v11
	v_pk_fma_f16 v12, v61, s61, v63 op_sel_hi:[0,1,1]
	s_mov_b32 s6, 0x2de83722
	v_pk_mul_f16 v65, v14, s30 op_sel_hi:[0,1]
	s_mov_b32 s34, 0xb1e1ba62
	v_pk_add_f16 v11, v12, v11
	v_pk_fma_f16 v12, v19, s6, v65 op_sel_hi:[0,1,1]
	s_mov_b32 s7, 0xbbddb8d2
	v_pk_mul_f16 v66, v45, s34 op_sel_hi:[0,1]
	s_mov_b32 s37, 0x3bb231e1
	v_pk_add_f16 v12, v12, v0 op_sel_hi:[1,0]
	v_pk_fma_f16 v13, v36, s7, v66 op_sel_hi:[0,1,1]
	s_mov_b32 s10, 0xb461bbdd
	v_pk_mul_f16 v67, v50, s37 op_sel_hi:[0,1]
	s_mov_b32 s38, 0x35c83bb2
	v_pk_add_f16 v12, v13, v12
	v_pk_fma_f16 v13, v49, s10, v67 op_sel_hi:[0,1,1]
	s_mov_b32 s15, 0x3b76b461
	v_pk_mul_f16 v68, v53, s38 op_sel_hi:[0,1]
	s_mov_b32 s41, 0xbb293964
	v_pk_add_f16 v12, v13, v12
	;; [unrolled: 5-line block ×4, first 2 shown]
	v_pk_fma_f16 v13, v58, s21, v70 op_sel_hi:[0,1,1]
	s_mov_b32 s24, 0xb8d22de8
	v_pk_mul_f16 v71, v62, s47 op_sel_hi:[0,1]
	s_mov_b32 s52, 0x3964b836
	v_sub_f16_e32 v64, v35, v43
	v_pk_add_f16 v12, v13, v12
	v_pk_fma_f16 v13, v61, s24, v71 op_sel_hi:[0,1,1]
	s_mov_b32 s11, 0x35c8b1e1
	s_mov_b32 s29, 0x39e9bacd
	v_add_f16_e32 v72, v20, v25
	v_pk_mul_f16 v74, v64, s52 op_sel_hi:[0,1]
	v_pk_add_f16 v12, v13, v12
	s_mov_b32 s62, 0x3b76bbdd
	v_pk_mul_f16 v73, v64, s11 op_sel_hi:[0,1]
	v_pk_fma_f16 v75, v72, s29, v74 op_sel_hi:[0,1,1]
	s_mov_b32 s39, 0xba62bbb2
	v_pk_fma_f16 v13, v72, s62, v73 op_sel_hi:[0,1,1]
	v_pk_add_f16 v12, v75, v12
	s_mov_b32 s11, 0xb8d2b461
	v_pk_mul_f16 v75, v14, s39 op_sel_hi:[0,1]
	s_mov_b32 s42, 0x3bb23836
	v_pk_add_f16 v11, v13, v11
	v_pk_fma_f16 v13, v19, s11, v75 op_sel_hi:[0,1,1]
	s_mov_b32 s16, 0xb461bacd
	v_pk_mul_f16 v76, v45, s42 op_sel_hi:[0,1]
	v_pk_add_f16 v13, v13, v0 op_sel_hi:[1,0]
	v_pk_fma_f16 v77, v36, s16, v76 op_sel_hi:[0,1,1]
	s_mov_b32 s45, 0xb5c83964
	v_pk_add_f16 v13, v77, v13
	s_mov_b32 s19, 0x3b7639e9
	v_pk_mul_f16 v77, v50, s45 op_sel_hi:[0,1]
	v_pk_fma_f16 v78, v49, s19, v77 op_sel_hi:[0,1,1]
	s_mov_b32 s48, 0xb836bb29
	v_pk_add_f16 v13, v78, v13
	s_mov_b32 s22, 0xbacd3722
	v_pk_mul_f16 v78, v53, s48 op_sel_hi:[0,1]
	v_pk_fma_f16 v79, v52, s22, v78 op_sel_hi:[0,1,1]
	s_mov_b32 s50, 0x3bf7b1e1
	v_pk_add_f16 v13, v79, v13
	s_mov_b32 s25, 0x2de8bbdd
	v_pk_mul_f16 v79, v56, s50 op_sel_hi:[0,1]
	v_pk_fma_f16 v80, v55, s25, v79 op_sel_hi:[0,1,1]
	s_mov_b32 s53, 0xb9643bf7
	v_pk_add_f16 v13, v80, v13
	s_mov_b32 s27, 0x39e92de8
	v_pk_mul_f16 v80, v59, s53 op_sel_hi:[0,1]
	v_pk_fma_f16 v81, v58, s27, v80 op_sel_hi:[0,1,1]
	s_mov_b32 s55, 0xb1e1b5c8
	v_pk_add_f16 v13, v81, v13
	s_mov_b32 s31, 0xbbdd3b76
	v_pk_mul_f16 v81, v62, s55 op_sel_hi:[0,1]
	v_pk_fma_f16 v82, v61, s31, v81 op_sel_hi:[0,1,1]
	s_mov_b32 s57, 0x3b29ba62
	v_pk_add_f16 v13, v82, v13
	s_mov_b32 s35, 0x3722b8d2
	v_pk_mul_f16 v82, v64, s57 op_sel_hi:[0,1]
	v_pk_fma_f16 v83, v72, s35, v82 op_sel_hi:[0,1,1]
	s_mov_b32 s40, 0xb1e1b836
	v_pk_add_f16 v13, v83, v13
	s_mov_b32 s14, 0xbbddbacd
	v_pk_mul_f16 v83, v14, s40 op_sel_hi:[0,1]
	s_mov_b32 s43, 0x35c83b29
	v_pk_fma_f16 v14, v19, s14, v83 op_sel_hi:[0,1,1]
	s_mov_b32 s17, 0x3b763722
	v_pk_mul_f16 v45, v45, s43 op_sel_hi:[0,1]
	s_mov_b32 s46, 0xb836bbf7
	v_pk_add_f16 v14, v14, v0 op_sel_hi:[1,0]
	v_pk_fma_f16 v84, v36, s17, v45 op_sel_hi:[0,1,1]
	s_mov_b32 s20, 0xbacd2de8
	v_pk_mul_f16 v50, v50, s46 op_sel_hi:[0,1]
	s_mov_b32 s49, 0x39643a62
	v_pk_add_f16 v14, v84, v14
	v_pk_fma_f16 v84, v49, s20, v50 op_sel_hi:[0,1,1]
	s_mov_b32 s23, 0x39e9b8d2
	v_pk_mul_f16 v53, v53, s49 op_sel_hi:[0,1]
	s_mov_b32 s51, 0xba62b5c8
	v_pk_add_f16 v14, v84, v14
	;; [unrolled: 5-line block ×4, first 2 shown]
	v_pk_fma_f16 v84, v58, s28, v59 op_sel_hi:[0,1,1]
	s_mov_b32 s33, 0xb46139e9
	v_pk_mul_f16 v62, v62, s56 op_sel_hi:[0,1]
	v_pk_add_f16 v14, v84, v14
	v_pk_fma_f16 v84, v61, s33, v62 op_sel_hi:[0,1,1]
	s_mov_b32 s58, 0x3bf7bbb2
	v_pk_add_f16 v14, v84, v14
	s_mov_b32 s36, 0x2de8b461
	v_pk_mul_f16 v84, v64, s58 op_sel_hi:[0,1]
	v_pk_fma_f16 v64, v72, s36, v84 op_sel_hi:[0,1,1]
	v_pk_add_f16 v14, v64, v14
	v_mad_u32_u24 v64, v7, 34, 0
	ds_write_b128 v64, v[11:14] offset:2
	v_add_f16_e32 v11, v1, v0
	v_add_f16_e32 v11, v2, v11
	;; [unrolled: 1-line block ×16, first 2 shown]
	ds_write_b16 v64, v11
	v_pk_fma_f16 v11, v19, s14, v83 op_sel_hi:[0,1,1] neg_lo:[0,0,1] neg_hi:[0,0,1]
	v_pk_add_f16 v11, v11, v0 op_sel_hi:[1,0]
	v_pk_fma_f16 v12, v36, s17, v45 op_sel_hi:[0,1,1] neg_lo:[0,0,1] neg_hi:[0,0,1]
	v_pk_add_f16 v11, v12, v11
	v_pk_fma_f16 v12, v49, s20, v50 op_sel_hi:[0,1,1] neg_lo:[0,0,1] neg_hi:[0,0,1]
	v_pk_add_f16 v11, v12, v11
	v_pk_fma_f16 v12, v52, s23, v53 op_sel_hi:[0,1,1] neg_lo:[0,0,1] neg_hi:[0,0,1]
	v_pk_add_f16 v11, v12, v11
	v_pk_fma_f16 v12, v55, s26, v56 op_sel_hi:[0,1,1] neg_lo:[0,0,1] neg_hi:[0,0,1]
	v_pk_add_f16 v11, v12, v11
	v_pk_fma_f16 v12, v58, s28, v59 op_sel_hi:[0,1,1] neg_lo:[0,0,1] neg_hi:[0,0,1]
	v_pk_add_f16 v11, v12, v11
	v_pk_fma_f16 v12, v61, s33, v62 op_sel_hi:[0,1,1] neg_lo:[0,0,1] neg_hi:[0,0,1]
	v_pk_add_f16 v11, v12, v11
	v_pk_fma_f16 v12, v72, s36, v84 op_sel_hi:[0,1,1] neg_lo:[0,0,1] neg_hi:[0,0,1]
	v_pk_add_f16 v11, v12, v11
	v_pk_fma_f16 v12, v19, s11, v75 op_sel_hi:[0,1,1] neg_lo:[0,0,1] neg_hi:[0,0,1]
	v_pk_add_f16 v12, v12, v0 op_sel_hi:[1,0]
	v_pk_fma_f16 v13, v36, s16, v76 op_sel_hi:[0,1,1] neg_lo:[0,0,1] neg_hi:[0,0,1]
	v_pk_add_f16 v12, v13, v12
	v_pk_fma_f16 v13, v49, s19, v77 op_sel_hi:[0,1,1] neg_lo:[0,0,1] neg_hi:[0,0,1]
	v_pk_add_f16 v12, v13, v12
	v_pk_fma_f16 v13, v52, s22, v78 op_sel_hi:[0,1,1] neg_lo:[0,0,1] neg_hi:[0,0,1]
	v_pk_add_f16 v12, v13, v12
	v_pk_fma_f16 v13, v55, s25, v79 op_sel_hi:[0,1,1] neg_lo:[0,0,1] neg_hi:[0,0,1]
	v_pk_add_f16 v12, v13, v12
	v_pk_fma_f16 v13, v58, s27, v80 op_sel_hi:[0,1,1] neg_lo:[0,0,1] neg_hi:[0,0,1]
	v_pk_add_f16 v12, v13, v12
	v_pk_fma_f16 v13, v61, s31, v81 op_sel_hi:[0,1,1] neg_lo:[0,0,1] neg_hi:[0,0,1]
	v_pk_add_f16 v12, v13, v12
	v_pk_fma_f16 v13, v72, s35, v82 op_sel_hi:[0,1,1] neg_lo:[0,0,1] neg_hi:[0,0,1]
	v_pk_add_f16 v12, v13, v12
	;; [unrolled: 16-line block ×3, first 2 shown]
	v_pk_fma_f16 v14, v19, s0, v47 op_sel_hi:[0,1,1] neg_lo:[0,0,1] neg_hi:[0,0,1]
	v_pk_fma_f16 v19, v36, s1, v48 op_sel_hi:[0,1,1] neg_lo:[0,0,1] neg_hi:[0,0,1]
	v_pk_add_f16 v14, v14, v0 op_sel_hi:[1,0]
	v_pk_add_f16 v14, v19, v14
	v_pk_fma_f16 v19, v49, s4, v51 op_sel_hi:[0,1,1] neg_lo:[0,0,1] neg_hi:[0,0,1]
	v_pk_add_f16 v14, v19, v14
	v_pk_fma_f16 v19, v52, s5, v54 op_sel_hi:[0,1,1] neg_lo:[0,0,1] neg_hi:[0,0,1]
	v_pk_add_f16 v14, v19, v14
	v_pk_fma_f16 v19, v55, s59, v57 op_sel_hi:[0,1,1] neg_lo:[0,0,1] neg_hi:[0,0,1]
	v_pk_add_f16 v14, v19, v14
	v_pk_fma_f16 v19, v58, s60, v60 op_sel_hi:[0,1,1] neg_lo:[0,0,1] neg_hi:[0,0,1]
	v_pk_add_f16 v14, v19, v14
	v_pk_fma_f16 v19, v61, s61, v63 op_sel_hi:[0,1,1] neg_lo:[0,0,1] neg_hi:[0,0,1]
	v_pk_add_f16 v14, v19, v14
	v_pk_fma_f16 v19, v72, s62, v73 op_sel_hi:[0,1,1] neg_lo:[0,0,1] neg_hi:[0,0,1]
	v_pk_add_f16 v47, v19, v14
	v_alignbit_b32 v11, v11, v11, 16
	v_alignbit_b32 v12, v12, v12, 16
	;; [unrolled: 1-line block ×4, first 2 shown]
	ds_write_b128 v64, v[11:14] offset:18
	v_lshlrev_b32_e32 v11, 5, v7
	v_sub_u32_e32 v13, 0, v11
	v_sub_u32_e32 v11, v64, v11
	s_waitcnt lgkmcnt(0)
	s_barrier
	ds_read_u16 v50, v11 offset:748
	ds_read_u16 v49, v11 offset:1326
	ds_read_u16 v58, v11 offset:1156
	ds_read_u16 v52, v11 offset:918
	ds_read_u16 v51, v11 offset:2652
	ds_read_u16 v54, v11 offset:2482
	ds_read_u16 v60, v11 offset:2312
	ds_read_u16 v53, v11 offset:2074
	ds_read_u16 v56, v11 offset:1904
	ds_read_u16 v62, v11 offset:1734
	ds_read_u16 v55, v11 offset:1496
	v_lshl_add_u32 v12, v10, 1, 0
	ds_read_u16 v45, v12
	v_lshl_add_u32 v14, v9, 1, 0
	ds_read_u16 v63, v11 offset:578
	ds_read_u16 v48, v11
	ds_read_u16 v36, v14
	v_cmp_gt_u32_e64 s[0:1], 34, v7
	v_add_u32_e32 v11, v64, v13
	v_lshrrev_b32_e32 v19, 16, v47
	v_lshl_add_u32 v13, v8, 1, 0
                                        ; implicit-def: $vgpr57
                                        ; implicit-def: $vgpr59
                                        ; implicit-def: $vgpr61
	s_and_saveexec_b64 s[4:5], s[0:1]
	s_cbranch_execz .LBB0_15
; %bb.14:
	ds_read_u16 v47, v11 offset:1088
	ds_read_u16 v61, v11 offset:1666
	;; [unrolled: 1-line block ×3, first 2 shown]
	ds_read_u16 v19, v13
	ds_read_u16 v57, v11 offset:2822
.LBB0_15:
	s_or_b64 exec, exec, s[4:5]
	v_add_f16_sdwa v65, v24, v0 dst_sel:DWORD dst_unused:UNUSED_PAD src0_sel:DWORD src1_sel:WORD_1
	v_add_f16_e32 v65, v26, v65
	v_sub_f16_e32 v1, v1, v37
	s_mov_b32 s4, 0xb5c8b964
	v_add_f16_e32 v65, v28, v65
	v_add_f16_e32 v24, v24, v42
	v_sub_f16_e32 v2, v2, v23
	v_sub_f16_e32 v22, v3, v22
	v_pk_mul_f16 v3, v1, s4 op_sel_hi:[0,1]
	s_mov_b32 s4, 0xb964bbf7
	v_add_f16_e32 v65, v30, v65
	v_add_f16_e32 v26, v26, v41
	;; [unrolled: 1-line block ×4, first 2 shown]
	v_sub_f16_e32 v30, v16, v31
	v_sub_f16_e32 v29, v17, v29
	v_pk_fma_f16 v16, v24, s19, v3 op_sel_hi:[0,1,1]
	v_pk_mul_f16 v17, v2, s4 op_sel_hi:[0,1]
	v_sub_f16_e32 v20, v20, v25
	v_pk_add_f16 v16, v16, v0 op_sel:[0,1]
	v_pk_fma_f16 v25, v26, s27, v17 op_sel_hi:[0,1,1]
	s_mov_b32 s4, 0xbb29ba62
	v_add_f16_e32 v65, v32, v65
	v_pk_add_f16 v16, v25, v16
	v_pk_mul_f16 v25, v22, s4 op_sel_hi:[0,1]
	v_add_f16_e32 v65, v33, v65
	v_sub_f16_e32 v15, v15, v21
	v_add_f16_e32 v31, v33, v46
	v_pk_fma_f16 v33, v23, s35, v25 op_sel_hi:[0,1,1]
	s_mov_b32 s4, 0xbbf7b1e1
	v_pk_add_f16 v16, v33, v16
	v_pk_mul_f16 v33, v15, s4 op_sel_hi:[0,1]
	v_add_f16_e32 v65, v34, v65
	v_add_f16_e32 v21, v32, v38
	;; [unrolled: 1-line block ×3, first 2 shown]
	v_pk_fma_f16 v34, v28, s25, v33 op_sel_hi:[0,1,1]
	s_mov_b32 s4, 0xbbb23836
	v_pk_add_f16 v16, v34, v16
	v_pk_mul_f16 v34, v30, s4 op_sel_hi:[0,1]
	v_pk_fma_f16 v3, v24, s19, v3 op_sel_hi:[0,1,1] neg_lo:[0,0,1] neg_hi:[0,0,1]
	v_add_f16_e32 v65, v35, v65
	v_sub_f16_e32 v18, v18, v27
	v_add_f16_e32 v27, v35, v43
	v_pk_fma_f16 v35, v21, s16, v34 op_sel_hi:[0,1,1]
	s_mov_b32 s4, 0xba623bb2
	v_pk_add_f16 v3, v3, v0 op_sel:[0,1]
	v_pk_fma_f16 v17, v26, s27, v17 op_sel_hi:[0,1,1] neg_lo:[0,0,1] neg_hi:[0,0,1]
	v_add_f16_e32 v65, v43, v65
	v_pk_add_f16 v16, v35, v16
	v_pk_mul_f16 v35, v29, s4 op_sel_hi:[0,1]
	v_pk_add_f16 v3, v17, v3
	v_pk_fma_f16 v17, v23, s35, v25 op_sel_hi:[0,1,1] neg_lo:[0,0,1] neg_hi:[0,0,1]
	v_add_f16_e32 v65, v44, v65
	v_pk_fma_f16 v37, v31, s11, v35 op_sel_hi:[0,1,1]
	s_mov_b32 s4, 0xb8363b29
	v_pk_add_f16 v3, v17, v3
	v_pk_fma_f16 v17, v28, s25, v33 op_sel_hi:[0,1,1] neg_lo:[0,0,1] neg_hi:[0,0,1]
	v_add_f16_e32 v65, v46, v65
	v_pk_add_f16 v16, v37, v16
	v_pk_mul_f16 v37, v18, s4 op_sel_hi:[0,1]
	v_pk_add_f16 v3, v17, v3
	v_pk_fma_f16 v17, v21, s16, v34 op_sel_hi:[0,1,1] neg_lo:[0,0,1] neg_hi:[0,0,1]
	v_add_f16_e32 v65, v38, v65
	v_pk_fma_f16 v38, v32, s22, v37 op_sel_hi:[0,1,1]
	s_mov_b32 s4, 0xb1e135c8
	v_pk_add_f16 v3, v17, v3
	v_pk_fma_f16 v17, v31, s11, v35 op_sel_hi:[0,1,1] neg_lo:[0,0,1] neg_hi:[0,0,1]
	v_pk_add_f16 v16, v38, v16
	v_pk_mul_f16 v38, v20, s4 op_sel_hi:[0,1]
	v_pk_add_f16 v3, v17, v3
	v_pk_fma_f16 v17, v32, s22, v37 op_sel_hi:[0,1,1] neg_lo:[0,0,1] neg_hi:[0,0,1]
	v_pk_add_f16 v3, v17, v3
	v_pk_fma_f16 v17, v27, s31, v38 op_sel_hi:[0,1,1] neg_lo:[0,0,1] neg_hi:[0,0,1]
	v_add_f16_e32 v65, v39, v65
	v_pk_fma_f16 v39, v27, s31, v38 op_sel_hi:[0,1,1]
	v_pk_add_f16 v25, v17, v3
	v_pk_mul_f16 v17, v1, s30 op_sel_hi:[0,1]
	v_pk_add_f16 v3, v39, v16
	v_pk_fma_f16 v16, v24, s6, v17 op_sel_hi:[0,1,1] neg_lo:[0,0,1] neg_hi:[0,0,1]
	v_pk_mul_f16 v33, v2, s34 op_sel_hi:[0,1]
	v_pk_add_f16 v16, v16, v0 op_sel:[0,1]
	v_pk_fma_f16 v34, v26, s7, v33 op_sel_hi:[0,1,1] neg_lo:[0,0,1] neg_hi:[0,0,1]
	v_pk_add_f16 v16, v34, v16
	v_pk_mul_f16 v34, v22, s37 op_sel_hi:[0,1]
	v_pk_fma_f16 v35, v23, s10, v34 op_sel_hi:[0,1,1] neg_lo:[0,0,1] neg_hi:[0,0,1]
	v_pk_add_f16 v16, v35, v16
	v_pk_mul_f16 v35, v15, s38 op_sel_hi:[0,1]
	;; [unrolled: 3-line block ×3, first 2 shown]
	v_pk_fma_f16 v17, v24, s6, v17 op_sel_hi:[0,1,1]
	v_pk_fma_f16 v38, v21, s18, v37 op_sel_hi:[0,1,1] neg_lo:[0,0,1] neg_hi:[0,0,1]
	v_pk_add_f16 v17, v17, v0 op_sel:[0,1]
	v_pk_fma_f16 v33, v26, s7, v33 op_sel_hi:[0,1,1]
	v_pk_add_f16 v16, v38, v16
	v_pk_mul_f16 v38, v29, s44 op_sel_hi:[0,1]
	v_pk_add_f16 v17, v33, v17
	v_pk_fma_f16 v33, v23, s10, v34 op_sel_hi:[0,1,1]
	v_pk_fma_f16 v39, v31, s21, v38 op_sel_hi:[0,1,1] neg_lo:[0,0,1] neg_hi:[0,0,1]
	v_pk_add_f16 v17, v33, v17
	v_pk_fma_f16 v33, v28, s15, v35 op_sel_hi:[0,1,1]
	v_pk_add_f16 v16, v39, v16
	v_pk_mul_f16 v39, v18, s47 op_sel_hi:[0,1]
	v_pk_add_f16 v17, v33, v17
	v_pk_fma_f16 v33, v21, s18, v37 op_sel_hi:[0,1,1]
	v_add_f16_e32 v65, v40, v65
	v_pk_fma_f16 v40, v32, s24, v39 op_sel_hi:[0,1,1] neg_lo:[0,0,1] neg_hi:[0,0,1]
	v_pk_add_f16 v17, v33, v17
	v_pk_fma_f16 v33, v31, s21, v38 op_sel_hi:[0,1,1]
	v_pk_add_f16 v16, v40, v16
	v_pk_mul_f16 v40, v20, s52 op_sel_hi:[0,1]
	v_pk_add_f16 v17, v33, v17
	v_pk_fma_f16 v33, v32, s24, v39 op_sel_hi:[0,1,1]
	v_pk_add_f16 v17, v33, v17
	v_pk_fma_f16 v33, v27, s29, v40 op_sel_hi:[0,1,1]
	v_pk_mul_f16 v34, v1, s39 op_sel_hi:[0,1]
	v_pk_add_f16 v33, v33, v17
	v_pk_fma_f16 v17, v24, s11, v34 op_sel_hi:[0,1,1] neg_lo:[0,0,1] neg_hi:[0,0,1]
	v_pk_mul_f16 v35, v2, s42 op_sel_hi:[0,1]
	v_pk_add_f16 v17, v17, v0 op_sel:[0,1]
	v_pk_fma_f16 v37, v26, s16, v35 op_sel_hi:[0,1,1] neg_lo:[0,0,1] neg_hi:[0,0,1]
	v_pk_add_f16 v17, v37, v17
	v_pk_mul_f16 v37, v22, s45 op_sel_hi:[0,1]
	v_pk_fma_f16 v38, v23, s19, v37 op_sel_hi:[0,1,1] neg_lo:[0,0,1] neg_hi:[0,0,1]
	v_pk_add_f16 v17, v38, v17
	v_pk_mul_f16 v38, v15, s48 op_sel_hi:[0,1]
	;; [unrolled: 3-line block ×3, first 2 shown]
	v_pk_fma_f16 v34, v24, s11, v34 op_sel_hi:[0,1,1]
	v_add_f16_e32 v65, v41, v65
	v_pk_fma_f16 v41, v27, s29, v40 op_sel_hi:[0,1,1] neg_lo:[0,0,1] neg_hi:[0,0,1]
	v_pk_fma_f16 v40, v21, s25, v39 op_sel_hi:[0,1,1] neg_lo:[0,0,1] neg_hi:[0,0,1]
	v_pk_add_f16 v34, v34, v0 op_sel:[0,1]
	v_pk_fma_f16 v35, v26, s16, v35 op_sel_hi:[0,1,1]
	v_pk_add_f16 v17, v40, v17
	v_pk_mul_f16 v40, v29, s53 op_sel_hi:[0,1]
	v_pk_add_f16 v34, v35, v34
	v_pk_fma_f16 v35, v23, s19, v37 op_sel_hi:[0,1,1]
	v_pk_add_f16 v16, v41, v16
	v_pk_fma_f16 v41, v31, s27, v40 op_sel_hi:[0,1,1] neg_lo:[0,0,1] neg_hi:[0,0,1]
	v_pk_add_f16 v34, v35, v34
	v_pk_fma_f16 v35, v28, s22, v38 op_sel_hi:[0,1,1]
	v_pk_add_f16 v17, v41, v17
	v_pk_mul_f16 v41, v18, s55 op_sel_hi:[0,1]
	v_pk_add_f16 v34, v35, v34
	v_pk_fma_f16 v35, v21, s25, v39 op_sel_hi:[0,1,1]
	v_add_f16_e32 v65, v42, v65
	v_pk_fma_f16 v42, v32, s31, v41 op_sel_hi:[0,1,1] neg_lo:[0,0,1] neg_hi:[0,0,1]
	v_pk_add_f16 v34, v35, v34
	v_pk_fma_f16 v35, v31, s27, v40 op_sel_hi:[0,1,1]
	v_pk_add_f16 v17, v42, v17
	v_pk_mul_f16 v42, v20, s57 op_sel_hi:[0,1]
	v_pk_add_f16 v34, v35, v34
	v_pk_fma_f16 v35, v32, s31, v41 op_sel_hi:[0,1,1]
	v_pk_add_f16 v34, v35, v34
	v_pk_fma_f16 v35, v27, s35, v42 op_sel_hi:[0,1,1]
	v_pk_mul_f16 v1, v1, s40 op_sel_hi:[0,1]
	v_pk_add_f16 v34, v35, v34
	v_pk_fma_f16 v35, v24, s14, v1 op_sel_hi:[0,1,1] neg_lo:[0,0,1] neg_hi:[0,0,1]
	v_pk_mul_f16 v2, v2, s43 op_sel_hi:[0,1]
	v_pk_add_f16 v35, v35, v0 op_sel:[0,1]
	v_pk_fma_f16 v37, v26, s17, v2 op_sel_hi:[0,1,1] neg_lo:[0,0,1] neg_hi:[0,0,1]
	v_pk_mul_f16 v22, v22, s46 op_sel_hi:[0,1]
	v_pk_fma_f16 v1, v24, s14, v1 op_sel_hi:[0,1,1]
	v_pk_add_f16 v35, v37, v35
	v_pk_fma_f16 v37, v23, s20, v22 op_sel_hi:[0,1,1] neg_lo:[0,0,1] neg_hi:[0,0,1]
	v_pk_mul_f16 v15, v15, s49 op_sel_hi:[0,1]
	v_pk_add_f16 v0, v1, v0 op_sel:[0,1]
	v_pk_fma_f16 v1, v26, s17, v2 op_sel_hi:[0,1,1]
	v_pk_add_f16 v35, v37, v35
	v_pk_fma_f16 v37, v28, s23, v15 op_sel_hi:[0,1,1] neg_lo:[0,0,1] neg_hi:[0,0,1]
	v_pk_mul_f16 v30, v30, s51 op_sel_hi:[0,1]
	v_pk_add_f16 v0, v1, v0
	v_pk_fma_f16 v1, v23, s20, v22 op_sel_hi:[0,1,1]
	v_pk_add_f16 v35, v37, v35
	v_pk_fma_f16 v37, v21, s26, v30 op_sel_hi:[0,1,1] neg_lo:[0,0,1] neg_hi:[0,0,1]
	v_pk_mul_f16 v29, v29, s54 op_sel_hi:[0,1]
	v_pk_add_f16 v0, v1, v0
	v_pk_fma_f16 v1, v28, s23, v15 op_sel_hi:[0,1,1]
	v_pk_add_f16 v35, v37, v35
	v_pk_fma_f16 v37, v31, s28, v29 op_sel_hi:[0,1,1] neg_lo:[0,0,1] neg_hi:[0,0,1]
	v_pk_add_f16 v0, v1, v0
	v_pk_fma_f16 v1, v21, s26, v30 op_sel_hi:[0,1,1]
	v_pk_add_f16 v35, v37, v35
	v_pk_mul_f16 v37, v18, s56 op_sel_hi:[0,1]
	v_pk_add_f16 v0, v1, v0
	v_pk_fma_f16 v1, v31, s28, v29 op_sel_hi:[0,1,1]
	v_pk_mul_f16 v20, v20, s58 op_sel_hi:[0,1]
	v_pk_add_f16 v0, v1, v0
	v_pk_fma_f16 v1, v32, s33, v37 op_sel_hi:[0,1,1]
	v_pk_fma_f16 v18, v32, s33, v37 op_sel_hi:[0,1,1] neg_lo:[0,0,1] neg_hi:[0,0,1]
	v_pk_add_f16 v0, v1, v0
	v_pk_fma_f16 v1, v27, s36, v20 op_sel_hi:[0,1,1]
	v_pk_fma_f16 v43, v27, s35, v42 op_sel_hi:[0,1,1] neg_lo:[0,0,1] neg_hi:[0,0,1]
	v_pk_add_f16 v18, v18, v35
	v_pk_fma_f16 v35, v27, s36, v20 op_sel_hi:[0,1,1] neg_lo:[0,0,1] neg_hi:[0,0,1]
	v_pk_add_f16 v0, v1, v0
	v_pk_add_f16 v17, v43, v17
	;; [unrolled: 1-line block ×3, first 2 shown]
	v_alignbit_b32 v15, v25, v25, 16
	v_alignbit_b32 v0, v0, v0, 16
	;; [unrolled: 1-line block ×4, first 2 shown]
	s_waitcnt lgkmcnt(0)
	s_barrier
	ds_write_b16 v64, v65
	ds_write_b128 v64, v[15:18] offset:2
	ds_write_b128 v64, v[0:3] offset:18
	s_waitcnt lgkmcnt(0)
	s_barrier
	ds_read_u16 v2, v12
	ds_read_u16 v28, v11 offset:578
	ds_read_u16 v21, v11 offset:748
	;; [unrolled: 1-line block ×6, first 2 shown]
	ds_read_u16 v15, v11
	ds_read_u16 v0, v14
	ds_read_u16 v23, v11 offset:2482
	ds_read_u16 v18, v11 offset:2652
	;; [unrolled: 1-line block ×6, first 2 shown]
                                        ; implicit-def: $vgpr22
                                        ; implicit-def: $vgpr27
                                        ; implicit-def: $vgpr26
	s_and_saveexec_b64 s[4:5], s[0:1]
	s_cbranch_execz .LBB0_17
; %bb.16:
	ds_read_u16 v1, v11 offset:1088
	ds_read_u16 v26, v11 offset:1666
	;; [unrolled: 1-line block ×3, first 2 shown]
	ds_read_u16 v3, v13
	ds_read_u16 v22, v11 offset:2822
	s_mov_b32 s6, 0x5040100
	s_waitcnt lgkmcnt(1)
	v_perm_b32 v3, v1, v3, s6
.LBB0_17:
	s_or_b64 exec, exec, s[4:5]
	s_movk_i32 s4, 0xf1
	v_mul_lo_u16_sdwa v1, v7, s4 dst_sel:DWORD dst_unused:UNUSED_PAD src0_sel:BYTE_0 src1_sel:DWORD
	v_mul_lo_u16_sdwa v37, v10, s4 dst_sel:DWORD dst_unused:UNUSED_PAD src0_sel:BYTE_0 src1_sel:DWORD
	v_lshrrev_b16_e32 v43, 12, v1
	v_lshrrev_b16_e32 v77, 12, v37
	v_mul_lo_u16_e32 v1, 17, v43
	v_mul_lo_u16_e32 v37, 17, v77
	v_sub_u16_e32 v76, v7, v1
	v_mov_b32_e32 v1, 4
	v_sub_u16_e32 v78, v10, v37
	v_lshlrev_b32_sdwa v10, v1, v78 dst_sel:DWORD dst_unused:UNUSED_PAD src0_sel:DWORD src1_sel:BYTE_0
	global_load_dwordx4 v[64:67], v10, s[8:9]
	v_mul_lo_u16_sdwa v10, v9, s4 dst_sel:DWORD dst_unused:UNUSED_PAD src0_sel:BYTE_0 src1_sel:DWORD
	v_lshrrev_b16_e32 v79, 12, v10
	v_mul_lo_u16_e32 v10, 17, v79
	v_sub_u16_e32 v80, v9, v10
	v_lshlrev_b32_sdwa v32, v1, v76 dst_sel:DWORD dst_unused:UNUSED_PAD src0_sel:DWORD src1_sel:BYTE_0
	v_lshlrev_b32_sdwa v1, v1, v80 dst_sel:DWORD dst_unused:UNUSED_PAD src0_sel:DWORD src1_sel:BYTE_0
	s_mov_b32 s4, 0xf0f1
	global_load_dwordx4 v[32:35], v32, s[8:9]
	s_mov_b32 s7, 0xbb9c
	global_load_dwordx4 v[68:71], v1, s[8:9]
	v_mul_u32_u24_sdwa v1, v8, s4 dst_sel:DWORD dst_unused:UNUSED_PAD src0_sel:WORD_0 src1_sel:DWORD
	v_lshrrev_b32_e32 v1, 20, v1
	v_mul_lo_u16_e32 v9, 17, v1
	v_sub_u16_e32 v81, v8, v9
	v_lshlrev_b32_e32 v8, 4, v81
	global_load_dwordx4 v[72:75], v8, s[8:9]
	s_movk_i32 s11, 0x3b9c
	v_lshrrev_b32_e32 v9, 16, v3
	s_mov_b32 s6, 0xb8b4
	s_movk_i32 s14, 0x38b4
	s_movk_i32 s10, 0x34f2
	v_mul_u32_u24_e32 v43, 0xaa, v43
	s_waitcnt vmcnt(0) lgkmcnt(0)
	s_barrier
	v_mul_f16_sdwa v86, v20, v65 dst_sel:DWORD dst_unused:UNUSED_PAD src0_sel:DWORD src1_sel:WORD_1
	v_mul_f16_sdwa v84, v21, v64 dst_sel:DWORD dst_unused:UNUSED_PAD src0_sel:DWORD src1_sel:WORD_1
	;; [unrolled: 1-line block ×15, first 2 shown]
	v_fma_f16 v46, v58, v33, v37
	v_fma_f16 v58, v62, v34, v41
	v_mul_f16_sdwa v8, v28, v32 dst_sel:DWORD dst_unused:UNUSED_PAD src0_sel:DWORD src1_sel:WORD_1
	v_fma_f16 v38, v28, v32, -v10
	v_fma_f16 v41, v31, v34, -v42
	v_fma_f16 v60, v60, v35, v82
	v_fma_f16 v42, v30, v35, -v83
	v_fma_f16 v35, v49, v65, v86
	v_add_f16_e32 v49, v46, v58
	v_mul_f16_sdwa v92, v17, v68 dst_sel:DWORD dst_unused:UNUSED_PAD src0_sel:DWORD src1_sel:WORD_1
	v_mul_f16_sdwa v96, v24, v70 dst_sel:DWORD dst_unused:UNUSED_PAD src0_sel:DWORD src1_sel:WORD_1
	;; [unrolled: 1-line block ×3, first 2 shown]
	v_fma_f16 v44, v63, v32, v8
	v_fma_f16 v40, v29, v33, -v39
	v_fma_f16 v34, v50, v64, v84
	v_fma_f16 v49, v49, -0.5, v48
	v_sub_f16_e32 v50, v38, v42
	v_mul_f16_sdwa v93, v52, v68 dst_sel:DWORD dst_unused:UNUSED_PAD src0_sel:DWORD src1_sel:WORD_1
	v_mul_f16_sdwa v97, v53, v70 dst_sel:DWORD dst_unused:UNUSED_PAD src0_sel:DWORD src1_sel:WORD_1
	v_mul_f16_sdwa v99, v51, v71 dst_sel:DWORD dst_unused:UNUSED_PAD src0_sel:DWORD src1_sel:WORD_1
	v_fma_f16 v29, v21, v64, -v85
	v_fma_f16 v39, v54, v67, v90
	v_fma_f16 v21, v52, v68, v92
	v_fma_f16 v28, v53, v70, v96
	v_fma_f16 v30, v51, v71, v98
	v_fma_f16 v51, v50, s7, v49
	v_sub_f16_e32 v52, v40, v41
	v_sub_f16_e32 v53, v44, v46
	;; [unrolled: 1-line block ×3, first 2 shown]
	v_fma_f16 v49, v50, s11, v49
	v_mul_f16_sdwa v95, v55, v69 dst_sel:DWORD dst_unused:UNUSED_PAD src0_sel:DWORD src1_sel:WORD_1
	v_mul_f16_sdwa v100, v9, v72 dst_sel:DWORD dst_unused:UNUSED_PAD src0_sel:DWORD src1_sel:WORD_1
	v_fma_f16 v51, v52, s6, v51
	v_add_f16_e32 v53, v53, v54
	v_fma_f16 v49, v52, s14, v49
	v_mul_f16_sdwa v94, v25, v69 dst_sel:DWORD dst_unused:UNUSED_PAD src0_sel:DWORD src1_sel:WORD_1
	v_mul_f16_sdwa v101, v47, v72 dst_sel:DWORD dst_unused:UNUSED_PAD src0_sel:DWORD src1_sel:WORD_1
	;; [unrolled: 1-line block ×3, first 2 shown]
	v_fma_f16 v32, v16, v66, -v89
	v_fma_f16 v16, v25, v69, -v95
	v_fma_f16 v25, v47, v72, v100
	v_mul_f16_sdwa v47, v57, v75 dst_sel:DWORD dst_unused:UNUSED_PAD src0_sel:DWORD src1_sel:WORD_1
	v_fma_f16 v51, v53, s10, v51
	v_fma_f16 v49, v53, s10, v49
	v_add_f16_e32 v53, v44, v60
	v_mul_f16_sdwa v104, v27, v74 dst_sel:DWORD dst_unused:UNUSED_PAD src0_sel:DWORD src1_sel:WORD_1
	v_fma_f16 v31, v20, v65, -v87
	v_fma_f16 v20, v27, v74, -v105
	v_mul_f16_sdwa v27, v22, v75 dst_sel:DWORD dst_unused:UNUSED_PAD src0_sel:DWORD src1_sel:WORD_1
	v_fma_f16 v22, v22, v75, -v47
	v_add_f16_e32 v47, v48, v44
	v_fma_f16 v48, v53, -0.5, v48
	v_fma_f16 v37, v56, v66, v88
	v_fma_f16 v33, v23, v67, -v91
	v_fma_f16 v23, v55, v69, v94
	v_fma_f16 v53, v52, s11, v48
	v_sub_f16_e32 v54, v46, v44
	v_sub_f16_e32 v55, v58, v60
	v_fma_f16 v48, v52, s7, v48
	v_fma_f16 v53, v50, s6, v53
	v_add_f16_e32 v54, v54, v55
	v_fma_f16 v48, v50, s14, v48
	v_add_f16_e32 v52, v35, v37
	v_mul_f16_sdwa v103, v61, v73 dst_sel:DWORD dst_unused:UNUSED_PAD src0_sel:DWORD src1_sel:WORD_1
	v_fma_f16 v53, v54, s10, v53
	v_fma_f16 v48, v54, s10, v48
	v_fma_f16 v52, v52, -0.5, v45
	v_sub_f16_e32 v54, v29, v33
	v_mul_f16_sdwa v102, v26, v73 dst_sel:DWORD dst_unused:UNUSED_PAD src0_sel:DWORD src1_sel:WORD_1
	v_fma_f16 v10, v26, v73, -v103
	v_fma_f16 v26, v59, v74, v104
	v_fma_f16 v27, v57, v75, v27
	;; [unrolled: 1-line block ×3, first 2 shown]
	v_sub_f16_e32 v56, v31, v32
	v_sub_f16_e32 v57, v34, v35
	;; [unrolled: 1-line block ×3, first 2 shown]
	v_fma_f16 v52, v54, s11, v52
	v_fma_f16 v55, v56, s6, v55
	v_add_f16_e32 v57, v57, v59
	v_fma_f16 v52, v56, s14, v52
	v_fma_f16 v55, v57, s10, v55
	;; [unrolled: 1-line block ×3, first 2 shown]
	v_add_f16_e32 v57, v34, v39
	v_add_f16_e32 v50, v45, v34
	v_fma_f16 v45, v57, -0.5, v45
	v_fma_f16 v8, v17, v68, -v93
	v_fma_f16 v17, v24, v70, -v97
	v_fma_f16 v24, v61, v73, v102
	v_fma_f16 v57, v56, s11, v45
	v_sub_f16_e32 v59, v35, v34
	v_sub_f16_e32 v61, v37, v39
	v_fma_f16 v45, v56, s7, v45
	v_add_f16_e32 v59, v59, v61
	v_fma_f16 v45, v54, s14, v45
	v_fma_f16 v57, v54, s6, v57
	;; [unrolled: 1-line block ×3, first 2 shown]
	v_add_f16_e32 v45, v36, v21
	v_add_f16_e32 v45, v45, v23
	;; [unrolled: 1-line block ×3, first 2 shown]
	v_fma_f16 v18, v18, v71, -v99
	v_add_f16_e32 v56, v45, v30
	v_add_f16_e32 v45, v23, v28
	v_fma_f16 v57, v59, s10, v57
	v_fma_f16 v45, v45, -0.5, v36
	v_sub_f16_e32 v59, v8, v18
	v_fma_f16 v61, v59, s7, v45
	v_sub_f16_e32 v62, v16, v17
	v_sub_f16_e32 v63, v21, v23
	;; [unrolled: 1-line block ×3, first 2 shown]
	v_fma_f16 v45, v59, s11, v45
	v_fma_f16 v61, v62, s6, v61
	v_add_f16_e32 v63, v63, v64
	v_fma_f16 v45, v62, s14, v45
	v_fma_f16 v61, v63, s10, v61
	;; [unrolled: 1-line block ×3, first 2 shown]
	v_add_f16_e32 v45, v21, v30
	v_fma_f16 v36, v45, -0.5, v36
	v_fma_f16 v45, v62, s11, v36
	v_sub_f16_e32 v64, v23, v21
	v_sub_f16_e32 v65, v28, v30
	v_fma_f16 v36, v62, s7, v36
	v_add_f16_e32 v47, v47, v46
	v_fma_f16 v45, v59, s6, v45
	v_add_f16_e32 v64, v64, v65
	v_fma_f16 v36, v59, s14, v36
	v_mov_b32_e32 v59, 1
	v_add_f16_e32 v47, v47, v58
	v_fma_f16 v65, v64, s10, v45
	v_lshlrev_b32_sdwa v45, v59, v76 dst_sel:DWORD dst_unused:UNUSED_PAD src0_sel:DWORD src1_sel:BYTE_0
	v_add_f16_e32 v47, v47, v60
	v_add3_u32 v45, 0, v43, v45
	v_add_f16_e32 v50, v50, v35
	ds_write_b16 v45, v47
	ds_write_b16 v45, v51 offset:34
	ds_write_b16 v45, v53 offset:68
	;; [unrolled: 1-line block ×4, first 2 shown]
	v_mul_u32_u24_e32 v43, 0xaa, v77
	v_lshlrev_b32_sdwa v47, v59, v78 dst_sel:DWORD dst_unused:UNUSED_PAD src0_sel:DWORD src1_sel:BYTE_0
	v_add_f16_e32 v50, v50, v37
	v_add3_u32 v47, 0, v43, v47
	v_mul_u32_u24_e32 v43, 0xaa, v79
	v_lshlrev_b32_sdwa v48, v59, v80 dst_sel:DWORD dst_unused:UNUSED_PAD src0_sel:DWORD src1_sel:BYTE_0
	v_fma_f16 v9, v9, v72, -v101
	v_add_f16_e32 v50, v50, v39
	v_add3_u32 v48, 0, v43, v48
	v_lshlrev_b32_e32 v43, 1, v81
	v_fma_f16 v36, v64, s10, v36
	ds_write_b16 v47, v50
	ds_write_b16 v47, v55 offset:34
	ds_write_b16 v47, v57 offset:68
	;; [unrolled: 1-line block ×4, first 2 shown]
	ds_write_b16 v48, v56
	ds_write_b16 v48, v61 offset:34
	ds_write_b16 v48, v65 offset:68
	;; [unrolled: 1-line block ×4, first 2 shown]
	s_and_saveexec_b64 s[4:5], s[0:1]
	s_cbranch_execz .LBB0_19
; %bb.18:
	v_add_f16_e32 v50, v25, v27
	v_sub_f16_e32 v36, v24, v25
	v_sub_f16_e32 v49, v26, v27
	v_fma_f16 v50, v50, -0.5, v19
	v_sub_f16_e32 v51, v10, v20
	v_add_f16_e32 v36, v36, v49
	v_sub_f16_e32 v49, v9, v22
	v_fma_f16 v52, v51, s7, v50
	v_fma_f16 v50, v51, s11, v50
	;; [unrolled: 1-line block ×6, first 2 shown]
	v_sub_f16_e32 v50, v25, v24
	v_sub_f16_e32 v53, v27, v26
	v_add_f16_e32 v50, v50, v53
	v_add_f16_e32 v53, v24, v26
	v_fma_f16 v53, v53, -0.5, v19
	v_fma_f16 v54, v49, s11, v53
	v_fma_f16 v49, v49, s7, v53
	;; [unrolled: 1-line block ×4, first 2 shown]
	v_add_f16_e32 v19, v19, v25
	v_fma_f16 v54, v50, s10, v54
	v_fma_f16 v49, v50, s10, v49
	v_add_f16_e32 v19, v19, v24
	v_mul_lo_u16_e32 v50, 0x55, v1
	v_add_f16_e32 v19, v19, v26
	v_lshlrev_b32_e32 v50, 1, v50
	v_add_f16_e32 v19, v19, v27
	v_add3_u32 v50, 0, v43, v50
	ds_write_b16 v50, v19
	ds_write_b16 v50, v49 offset:34
	ds_write_b16 v50, v36 offset:68
	ds_write_b16 v50, v52 offset:102
	ds_write_b16 v50, v54 offset:136
.LBB0_19:
	s_or_b64 exec, exec, s[4:5]
	v_add_f16_e32 v19, v15, v38
	v_add_f16_e32 v19, v19, v40
	;; [unrolled: 1-line block ×5, first 2 shown]
	v_fma_f16 v19, v19, -0.5, v15
	v_sub_f16_e32 v36, v44, v60
	v_fma_f16 v44, v36, s11, v19
	v_sub_f16_e32 v46, v46, v58
	v_sub_f16_e32 v50, v38, v40
	;; [unrolled: 1-line block ×3, first 2 shown]
	v_fma_f16 v19, v36, s7, v19
	v_fma_f16 v44, v46, s14, v44
	v_add_f16_e32 v50, v50, v51
	v_fma_f16 v19, v46, s6, v19
	v_fma_f16 v44, v50, s10, v44
	v_fma_f16 v50, v50, s10, v19
	v_add_f16_e32 v19, v38, v42
	v_fma_f16 v15, v19, -0.5, v15
	v_fma_f16 v19, v46, s7, v15
	v_sub_f16_e32 v38, v40, v38
	v_sub_f16_e32 v40, v41, v42
	v_fma_f16 v15, v46, s11, v15
	v_fma_f16 v19, v36, s14, v19
	v_add_f16_e32 v38, v38, v40
	v_fma_f16 v15, v36, s6, v15
	v_fma_f16 v40, v38, s10, v19
	;; [unrolled: 1-line block ×3, first 2 shown]
	v_add_f16_e32 v15, v2, v29
	v_add_f16_e32 v15, v15, v31
	;; [unrolled: 1-line block ×5, first 2 shown]
	v_fma_f16 v15, v15, -0.5, v2
	v_sub_f16_e32 v19, v34, v39
	v_fma_f16 v34, v19, s11, v15
	v_sub_f16_e32 v35, v35, v37
	v_sub_f16_e32 v36, v29, v31
	;; [unrolled: 1-line block ×3, first 2 shown]
	v_fma_f16 v15, v19, s7, v15
	v_add_f16_e32 v36, v36, v37
	v_fma_f16 v15, v35, s6, v15
	v_fma_f16 v39, v36, s10, v15
	v_add_f16_e32 v15, v29, v33
	v_fma_f16 v2, v15, -0.5, v2
	v_fma_f16 v15, v35, s7, v2
	v_sub_f16_e32 v29, v31, v29
	v_sub_f16_e32 v31, v32, v33
	v_fma_f16 v15, v19, s14, v15
	v_add_f16_e32 v29, v29, v31
	v_fma_f16 v31, v29, s10, v15
	v_add_f16_e32 v15, v0, v8
	v_add_f16_e32 v15, v15, v16
	;; [unrolled: 1-line block ×3, first 2 shown]
	v_fma_f16 v2, v35, s11, v2
	v_add_f16_e32 v42, v15, v18
	v_add_f16_e32 v15, v16, v17
	v_fma_f16 v2, v19, s6, v2
	v_fma_f16 v15, v15, -0.5, v0
	v_sub_f16_e32 v19, v21, v30
	v_fma_f16 v2, v29, s10, v2
	v_fma_f16 v21, v19, s11, v15
	v_sub_f16_e32 v23, v23, v28
	v_sub_f16_e32 v28, v8, v16
	;; [unrolled: 1-line block ×3, first 2 shown]
	v_fma_f16 v15, v19, s7, v15
	v_add_f16_e32 v28, v28, v29
	v_fma_f16 v15, v23, s6, v15
	v_fma_f16 v51, v28, s10, v15
	v_add_f16_e32 v15, v8, v18
	v_fma_f16 v0, v15, -0.5, v0
	v_fma_f16 v15, v23, s7, v0
	v_sub_f16_e32 v8, v16, v8
	v_sub_f16_e32 v16, v17, v18
	v_fma_f16 v0, v23, s11, v0
	v_fma_f16 v34, v35, s14, v34
	;; [unrolled: 1-line block ×4, first 2 shown]
	v_add_f16_e32 v8, v8, v16
	v_fma_f16 v0, v19, s6, v0
	v_fma_f16 v37, v36, s10, v34
	;; [unrolled: 1-line block ×5, first 2 shown]
	s_waitcnt lgkmcnt(0)
	s_barrier
	ds_read_u16 v29, v12
	ds_read_u16 v28, v11 offset:680
	ds_read_u16 v21, v11 offset:850
	;; [unrolled: 1-line block ×5, first 2 shown]
	ds_read_u16 v0, v11
	ds_read_u16 v33, v14
	ds_read_u16 v30, v13
	ds_read_u16 v17, v11 offset:1530
	ds_read_u16 v18, v11 offset:1700
	;; [unrolled: 1-line block ×8, first 2 shown]
	s_waitcnt lgkmcnt(0)
	s_barrier
	ds_write_b16 v45, v49
	ds_write_b16 v45, v44 offset:34
	ds_write_b16 v45, v40 offset:68
	ds_write_b16 v45, v38 offset:102
	ds_write_b16 v45, v50 offset:136
	ds_write_b16 v47, v41
	ds_write_b16 v47, v37 offset:34
	ds_write_b16 v47, v31 offset:68
	ds_write_b16 v47, v2 offset:102
	ds_write_b16 v47, v39 offset:136
	;; [unrolled: 5-line block ×3, first 2 shown]
	s_and_saveexec_b64 s[4:5], s[0:1]
	s_cbranch_execz .LBB0_21
; %bb.20:
	v_add_f16_e32 v31, v10, v20
	v_fma_f16 v31, v31, -0.5, v3
	v_sub_f16_e32 v25, v25, v27
	s_movk_i32 s0, 0x3b9c
	v_fma_f16 v27, v25, s0, v31
	v_sub_f16_e32 v24, v24, v26
	s_movk_i32 s1, 0x38b4
	v_fma_f16 v26, v24, s1, v27
	v_sub_f16_e32 v27, v9, v10
	v_sub_f16_e32 v37, v22, v20
	v_fma_f16 v31, v25, s7, v31
	s_mov_b32 s10, 0xb8b4
	v_add_f16_e32 v27, v27, v37
	s_movk_i32 s6, 0x34f2
	v_fma_f16 v31, v24, s10, v31
	v_add_f16_e32 v2, v3, v9
	v_fma_f16 v26, v27, s6, v26
	v_fma_f16 v27, v27, s6, v31
	v_add_f16_e32 v31, v9, v22
	v_add_f16_e32 v2, v2, v10
	v_fma_f16 v3, v31, -0.5, v3
	v_mul_lo_u16_e32 v1, 0x55, v1
	v_add_f16_e32 v2, v2, v20
	v_fma_f16 v31, v24, s7, v3
	v_sub_f16_e32 v9, v10, v9
	v_sub_f16_e32 v10, v20, v22
	v_fma_f16 v3, v24, s0, v3
	v_lshlrev_b32_e32 v1, 1, v1
	v_add_f16_e32 v2, v2, v22
	v_fma_f16 v31, v25, s1, v31
	v_add_f16_e32 v9, v9, v10
	v_fma_f16 v3, v25, s10, v3
	v_add3_u32 v1, 0, v43, v1
	v_fma_f16 v10, v9, s6, v31
	v_fma_f16 v3, v9, s6, v3
	ds_write_b16 v1, v2
	ds_write_b16 v1, v26 offset:34
	ds_write_b16 v1, v10 offset:68
	;; [unrolled: 1-line block ×4, first 2 shown]
.LBB0_21:
	s_or_b64 exec, exec, s[4:5]
	s_waitcnt lgkmcnt(0)
	s_barrier
	s_and_saveexec_b64 s[0:1], vcc
	s_cbranch_execz .LBB0_23
; %bb.22:
	v_lshlrev_b32_e32 v1, 4, v7
	v_mov_b32_e32 v2, 0
	v_lshlrev_b64 v[1:2], 2, v[1:2]
	v_mov_b32_e32 v3, s9
	v_add_co_u32_e32 v1, vcc, s8, v1
	v_addc_co_u32_e32 v2, vcc, v3, v2, vcc
	global_load_dwordx4 v[24:27], v[1:2], off offset:320
	global_load_dwordx4 v[37:40], v[1:2], off offset:272
	;; [unrolled: 1-line block ×4, first 2 shown]
	ds_read_u16 v1, v12
	ds_read_u16 v3, v14
	;; [unrolled: 1-line block ×3, first 2 shown]
	ds_read_u16 v9, v11 offset:2720
	ds_read_u16 v10, v11 offset:2550
	;; [unrolled: 1-line block ×6, first 2 shown]
	ds_read_u16 v2, v11
	ds_read_u16 v22, v11 offset:680
	ds_read_u16 v49, v11 offset:850
	;; [unrolled: 1-line block ×7, first 2 shown]
	s_movk_i32 s9, 0x31e1
	s_mov_b32 s6, 0xb5c8
	s_movk_i32 s8, 0x3836
	s_mov_b32 s7, 0xb964
	;; [unrolled: 2-line block ×4, first 2 shown]
	s_mov_b32 s0, 0xbbdd
	s_movk_i32 s4, 0x3b76
	s_mov_b32 s1, 0xbacd
	s_movk_i32 s5, 0x39e9
	;; [unrolled: 2-line block ×4, first 2 shown]
	s_movk_i32 s25, 0x3bf7
	s_mov_b32 s19, 0xba62
	s_movk_i32 s20, 0x35c8
	s_mov_b32 s21, 0xbbb2
	;; [unrolled: 2-line block ×3, first 2 shown]
	s_mov_b32 s24, 0xb836
	s_movk_i32 s26, 0x3b29
	s_waitcnt vmcnt(3)
	v_mul_f16_sdwa v11, v32, v27 dst_sel:DWORD dst_unused:UNUSED_PAD src0_sel:DWORD src1_sel:WORD_1
	s_waitcnt vmcnt(2)
	v_mul_f16_sdwa v55, v29, v37 dst_sel:DWORD dst_unused:UNUSED_PAD src0_sel:DWORD src1_sel:WORD_1
	s_waitcnt lgkmcnt(14)
	v_mul_f16_sdwa v56, v1, v37 dst_sel:DWORD dst_unused:UNUSED_PAD src0_sel:DWORD src1_sel:WORD_1
	s_waitcnt lgkmcnt(13)
	v_mul_f16_sdwa v57, v9, v27 dst_sel:DWORD dst_unused:UNUSED_PAD src0_sel:DWORD src1_sel:WORD_1
	v_mul_f16_sdwa v58, v36, v26 dst_sel:DWORD dst_unused:UNUSED_PAD src0_sel:DWORD src1_sel:WORD_1
	;; [unrolled: 1-line block ×4, first 2 shown]
	v_fma_f16 v31, v9, v27, -v11
	v_fma_f16 v55, v1, v37, -v55
	v_mul_f16_sdwa v60, v3, v38 dst_sel:DWORD dst_unused:UNUSED_PAD src0_sel:DWORD src1_sel:WORD_1
	s_waitcnt lgkmcnt(12)
	v_mul_f16_sdwa v61, v10, v26 dst_sel:DWORD dst_unused:UNUSED_PAD src0_sel:DWORD src1_sel:WORD_1
	v_mul_f16_sdwa v64, v7, v39 dst_sel:DWORD dst_unused:UNUSED_PAD src0_sel:DWORD src1_sel:WORD_1
	v_mul_f16_sdwa v67, v28, v40 dst_sel:DWORD dst_unused:UNUSED_PAD src0_sel:DWORD src1_sel:WORD_1
	s_waitcnt lgkmcnt(6)
	v_mul_f16_sdwa v68, v22, v40 dst_sel:DWORD dst_unused:UNUSED_PAD src0_sel:DWORD src1_sel:WORD_1
	v_fma_f16 v37, v29, v37, v56
	v_fma_f16 v56, v32, v27, v57
	v_fma_f16 v32, v10, v26, -v58
	v_fma_f16 v57, v3, v38, -v59
	;; [unrolled: 1-line block ×3, first 2 shown]
	v_add_f16_e32 v63, v31, v55
	v_mul_f16_sdwa v62, v35, v25 dst_sel:DWORD dst_unused:UNUSED_PAD src0_sel:DWORD src1_sel:WORD_1
	v_mul_f16_sdwa v69, v13, v24 dst_sel:DWORD dst_unused:UNUSED_PAD src0_sel:DWORD src1_sel:WORD_1
	v_fma_f16 v38, v33, v38, v60
	v_fma_f16 v36, v36, v26, v61
	;; [unrolled: 1-line block ×3, first 2 shown]
	v_fma_f16 v60, v22, v40, -v67
	v_fma_f16 v40, v28, v40, v68
	v_sub_f16_e32 v9, v37, v56
	v_add_f16_e32 v64, v32, v57
	v_mul_f16_e32 v68, 0xbbdd, v63
	v_mul_f16_sdwa v65, v12, v25 dst_sel:DWORD dst_unused:UNUSED_PAD src0_sel:DWORD src1_sel:WORD_1
	v_mul_f16_sdwa v66, v34, v24 dst_sel:DWORD dst_unused:UNUSED_PAD src0_sel:DWORD src1_sel:WORD_1
	v_fma_f16 v33, v12, v25, -v62
	v_fma_f16 v34, v34, v24, v69
	v_sub_f16_e32 v10, v38, v36
	v_mul_f16_e32 v69, 0x3b76, v64
	v_fma_f16 v1, v9, s9, v68
	s_waitcnt vmcnt(1)
	v_mul_f16_sdwa v70, v23, v44 dst_sel:DWORD dst_unused:UNUSED_PAD src0_sel:DWORD src1_sel:WORD_1
	v_fma_f16 v35, v35, v25, v65
	v_fma_f16 v59, v13, v24, -v66
	v_add_f16_e32 v65, v33, v58
	v_fma_f16 v3, v10, s6, v69
	v_add_f16_e32 v1, v2, v1
	s_waitcnt vmcnt(0)
	v_mul_f16_sdwa v71, v21, v45 dst_sel:DWORD dst_unused:UNUSED_PAD src0_sel:DWORD src1_sel:WORD_1
	v_fma_f16 v61, v14, v44, -v70
	v_sub_f16_e32 v11, v39, v35
	v_add_f16_e32 v66, v59, v60
	v_mul_f16_e32 v70, 0xbacd, v65
	v_add_f16_e32 v1, v1, v3
	s_waitcnt lgkmcnt(5)
	v_mul_f16_sdwa v3, v49, v45 dst_sel:DWORD dst_unused:UNUSED_PAD src0_sel:DWORD src1_sel:WORD_1
	v_fma_f16 v62, v49, v45, -v71
	v_sub_f16_e32 v12, v40, v34
	v_mul_f16_e32 v71, 0x39e9, v66
	v_fma_f16 v7, v11, s8, v70
	v_fma_f16 v45, v21, v45, v3
	v_mul_f16_sdwa v3, v14, v44 dst_sel:DWORD dst_unused:UNUSED_PAD src0_sel:DWORD src1_sel:WORD_1
	v_add_f16_e32 v67, v61, v62
	v_fma_f16 v13, v12, s7, v71
	v_add_f16_e32 v1, v1, v7
	v_fma_f16 v44, v23, v44, v3
	v_add_f16_e32 v1, v1, v13
	v_mul_f16_e32 v72, 0xb8d2, v67
	v_sub_f16_e32 v13, v45, v44
	v_fma_f16 v3, v13, s22, v72
	v_add_f16_e32 v1, v1, v3
	v_mul_f16_sdwa v3, v19, v43 dst_sel:DWORD dst_unused:UNUSED_PAD src0_sel:DWORD src1_sel:WORD_1
	v_fma_f16 v49, v20, v43, -v3
	v_mul_f16_sdwa v3, v15, v46 dst_sel:DWORD dst_unused:UNUSED_PAD src0_sel:DWORD src1_sel:WORD_1
	s_waitcnt lgkmcnt(4)
	v_fma_f16 v73, v50, v46, -v3
	v_mul_f16_sdwa v3, v50, v46 dst_sel:DWORD dst_unused:UNUSED_PAD src0_sel:DWORD src1_sel:WORD_1
	v_fma_f16 v46, v15, v46, v3
	v_mul_f16_sdwa v3, v20, v43 dst_sel:DWORD dst_unused:UNUSED_PAD src0_sel:DWORD src1_sel:WORD_1
	v_add_f16_e32 v74, v49, v73
	v_fma_f16 v43, v19, v43, v3
	v_mul_f16_e32 v75, 0x3722, v74
	v_sub_f16_e32 v15, v46, v43
	v_fma_f16 v3, v15, s15, v75
	v_add_f16_e32 v1, v1, v3
	v_mul_f16_sdwa v3, v18, v42 dst_sel:DWORD dst_unused:UNUSED_PAD src0_sel:DWORD src1_sel:WORD_1
	s_waitcnt lgkmcnt(2)
	v_fma_f16 v50, v52, v42, -v3
	v_mul_f16_sdwa v3, v16, v47 dst_sel:DWORD dst_unused:UNUSED_PAD src0_sel:DWORD src1_sel:WORD_1
	v_fma_f16 v76, v51, v47, -v3
	v_mul_f16_sdwa v3, v51, v47 dst_sel:DWORD dst_unused:UNUSED_PAD src0_sel:DWORD src1_sel:WORD_1
	v_fma_f16 v47, v16, v47, v3
	v_mul_f16_sdwa v3, v52, v42 dst_sel:DWORD dst_unused:UNUSED_PAD src0_sel:DWORD src1_sel:WORD_1
	v_add_f16_e32 v77, v50, v76
	v_fma_f16 v42, v18, v42, v3
	v_mul_f16_e32 v78, 0xb461, v77
	v_sub_f16_e32 v16, v47, v42
	v_fma_f16 v3, v16, s18, v78
	v_add_f16_e32 v1, v1, v3
	v_mul_f16_sdwa v3, v17, v41 dst_sel:DWORD dst_unused:UNUSED_PAD src0_sel:DWORD src1_sel:WORD_1
	s_waitcnt lgkmcnt(1)
	v_fma_f16 v51, v53, v41, -v3
	v_mul_f16_sdwa v3, v8, v48 dst_sel:DWORD dst_unused:UNUSED_PAD src0_sel:DWORD src1_sel:WORD_1
	s_waitcnt lgkmcnt(0)
	v_fma_f16 v52, v54, v48, -v3
	v_mul_f16_sdwa v3, v54, v48 dst_sel:DWORD dst_unused:UNUSED_PAD src0_sel:DWORD src1_sel:WORD_1
	v_fma_f16 v48, v8, v48, v3
	v_mul_f16_sdwa v3, v53, v41 dst_sel:DWORD dst_unused:UNUSED_PAD src0_sel:DWORD src1_sel:WORD_1
	v_add_f16_e32 v79, v51, v52
	v_fma_f16 v41, v17, v41, v3
	v_mul_f16_e32 v80, 0x2de8, v79
	v_sub_f16_e32 v18, v48, v41
	v_sub_f16_e32 v53, v55, v31
	v_fma_f16 v3, v18, s17, v80
	v_add_f16_e32 v19, v56, v37
	v_mul_f16_e32 v54, 0xb1e1, v53
	v_sub_f16_e32 v81, v57, v32
	v_add_f16_e32 v1, v1, v3
	v_fma_f16 v3, v19, s0, v54
	v_add_f16_e32 v20, v36, v38
	v_mul_f16_e32 v82, 0x35c8, v81
	v_sub_f16_e32 v83, v58, v33
	v_add_f16_e32 v3, v0, v3
	;; [unrolled: 5-line block ×7, first 2 shown]
	v_fma_f16 v7, v25, s14, v92
	v_add_f16_e32 v26, v41, v48
	v_mul_f16_e32 v94, 0x3bf7, v93
	v_add_f16_e32 v3, v3, v7
	v_fma_f16 v7, v26, s16, v94
	v_mul_f16_e32 v95, 0xbacd, v63
	v_add_f16_e32 v3, v3, v7
	v_fma_f16 v7, v9, s8, v95
	;; [unrolled: 3-line block ×3, first 2 shown]
	v_mul_f16_e32 v97, 0x2de8, v65
	v_add_f16_e32 v37, v0, v37
	v_add_f16_e32 v7, v7, v8
	v_fma_f16 v8, v11, s25, v97
	v_mul_f16_e32 v98, 0xb8d2, v66
	v_add_f16_e32 v37, v37, v38
	v_add_f16_e32 v7, v7, v8
	v_fma_f16 v8, v12, s19, v98
	;; [unrolled: 4-line block ×13, first 2 shown]
	v_mul_f16_e32 v110, 0xbbb2, v93
	v_add_f16_e32 v34, v35, v34
	v_add_f16_e32 v35, v2, v55
	;; [unrolled: 1-line block ×3, first 2 shown]
	v_fma_f16 v14, v26, s14, v110
	v_mul_f16_e32 v111, 0xb8d2, v63
	v_add_f16_e32 v35, v35, v57
	v_add_f16_e32 v8, v8, v14
	v_fma_f16 v14, v9, s22, v111
	v_mul_f16_e32 v112, 0xb461, v64
	v_add_f16_e32 v35, v35, v58
	v_add_f16_e32 v14, v2, v14
	;; [unrolled: 4-line block ×14, first 2 shown]
	v_fma_f16 v27, v23, s5, v124
	v_mul_f16_e32 v125, 0xb1e1, v91
	v_add_f16_e32 v31, v31, v32
	v_fma_f16 v32, v9, s27, v68
	v_add_f16_e32 v17, v17, v27
	v_fma_f16 v27, v25, s0, v125
	v_mul_f16_e32 v126, 0x3b29, v93
	v_add_f16_e32 v32, v2, v32
	v_fma_f16 v33, v10, s20, v69
	v_add_f16_e32 v17, v17, v27
	;; [unrolled: 5-line block ×8, first 2 shown]
	v_fma_f16 v28, v15, s17, v132
	v_mul_f16_e32 v133, 0x3b76, v77
	v_add_f16_e32 v32, v32, v33
	v_fma_f16 v33, v19, s0, -v54
	v_add_f16_e32 v27, v27, v28
	v_fma_f16 v28, v16, s20, v133
	v_mul_f16_e32 v134, 0xb8d2, v79
	v_add_f16_e32 v33, v0, v33
	v_fma_f16 v35, v20, s4, -v82
	v_add_f16_e32 v27, v27, v28
	v_fma_f16 v28, v18, s22, v134
	v_mul_f16_e32 v135, 0xbbb2, v53
	v_add_f16_e32 v33, v33, v35
	v_fma_f16 v35, v21, s1, -v84
	v_add_f16_e32 v27, v27, v28
	v_fma_f16 v28, v19, s14, v135
	v_mul_f16_e32 v136, 0x3836, v81
	v_add_f16_e32 v33, v33, v35
	v_fma_f16 v35, v22, s5, -v86
	v_add_f16_e32 v28, v0, v28
	v_fma_f16 v29, v20, s1, v136
	v_mul_f16_e32 v137, 0x3964, v83
	v_add_f16_e32 v33, v33, v35
	v_fma_f16 v35, v24, s10, -v88
	v_add_f16_e32 v28, v28, v29
	v_fma_f16 v29, v21, s5, v137
	v_mul_f16_e32 v138, 0xbb29, v85
	v_add_f16_e32 v33, v33, v35
	v_fma_f16 v35, v23, s11, -v90
	v_add_f16_e32 v28, v28, v29
	v_fma_f16 v29, v22, s11, v138
	v_mul_f16_e32 v139, 0xb1e1, v87
	v_add_f16_e32 v33, v33, v35
	v_fma_f16 v35, v25, s14, -v92
	v_add_f16_e32 v28, v28, v29
	v_fma_f16 v29, v24, s0, v139
	v_mul_f16_e32 v140, 0x3bf7, v89
	v_add_f16_e32 v33, v33, v35
	v_fma_f16 v35, v26, s16, -v94
	v_add_f16_e32 v28, v28, v29
	v_fma_f16 v29, v23, s16, v140
	v_mul_f16_e32 v141, 0xb5c8, v91
	v_add_f16_e32 v33, v33, v35
	v_fma_f16 v35, v9, s24, v95
	v_add_f16_e32 v28, v28, v29
	v_fma_f16 v29, v25, s4, v141
	v_mul_f16_e32 v142, 0xba62, v93
	v_add_f16_e32 v34, v36, v34
	v_add_f16_e32 v35, v2, v35
	v_fma_f16 v36, v10, s26, v96
	v_add_f16_e32 v28, v28, v29
	v_fma_f16 v29, v26, s10, v142
	v_mul_f16_e32 v143, 0x2de8, v63
	v_add_f16_e32 v35, v35, v36
	v_fma_f16 v36, v11, s17, v97
	v_add_f16_e32 v28, v28, v29
	v_fma_f16 v29, v9, s25, v143
	v_mul_f16_e32 v144, 0xbbdd, v64
	;; [unrolled: 5-line block ×7, first 2 shown]
	v_add_f16_e32 v35, v35, v36
	v_fma_f16 v36, v19, s1, -v103
	v_add_f16_e32 v29, v29, v30
	v_fma_f16 v30, v16, s19, v149
	v_mul_f16_e32 v150, 0x39e9, v79
	v_add_f16_e32 v36, v0, v36
	v_fma_f16 v37, v20, s11, -v104
	v_add_f16_e32 v29, v29, v30
	v_fma_f16 v30, v18, s7, v150
	v_mul_f16_e32 v151, 0xbbf7, v53
	;; [unrolled: 5-line block ×3, first 2 shown]
	v_add_f16_e32 v36, v36, v37
	v_fma_f16 v37, v22, s10, -v106
	v_add_f16_e32 v30, v0, v30
	v_fma_f16 v153, v20, s0, v152
	v_add_f16_e32 v36, v36, v37
	v_fma_f16 v37, v24, s4, -v107
	v_add_f16_e32 v30, v30, v153
	v_mul_f16_e32 v153, 0x3bb2, v83
	v_add_f16_e32 v36, v36, v37
	v_fma_f16 v37, v23, s0, -v108
	v_fma_f16 v154, v21, s14, v153
	v_add_f16_e32 v36, v36, v37
	v_fma_f16 v37, v25, s5, -v109
	v_add_f16_e32 v30, v30, v154
	v_mul_f16_e32 v154, 0x35c8, v85
	v_add_f16_e32 v36, v36, v37
	v_fma_f16 v37, v26, s14, -v110
	v_fma_f16 v155, v22, s4, v154
	v_add_f16_e32 v36, v36, v37
	v_fma_f16 v37, v9, s19, v111
	v_add_f16_e32 v30, v30, v155
	v_mul_f16_e32 v155, 0xbb29, v87
	v_add_f16_e32 v37, v2, v37
	v_fma_f16 v38, v10, s18, v112
	v_fma_f16 v156, v24, s11, v155
	v_add_f16_e32 v37, v37, v38
	v_fma_f16 v38, v11, s6, v113
	v_add_f16_e32 v30, v30, v156
	v_mul_f16_e32 v156, 0xb836, v89
	v_add_f16_e32 v37, v37, v38
	v_fma_f16 v38, v12, s24, v114
	;; [unrolled: 7-line block ×4, first 2 shown]
	v_fma_f16 v159, v26, s5, v158
	v_add_f16_e32 v37, v37, v38
	v_fma_f16 v38, v19, s10, -v119
	v_add_f16_e32 v30, v30, v159
	v_mul_f16_e32 v159, 0x3722, v63
	v_add_f16_e32 v38, v0, v38
	v_fma_f16 v39, v20, s14, -v120
	v_fma_f16 v160, v9, s26, v159
	v_mul_f16_e32 v161, 0xb8d2, v64
	v_add_f16_e32 v38, v38, v39
	v_fma_f16 v39, v21, s4, -v121
	v_add_f16_e32 v160, v2, v160
	v_fma_f16 v162, v10, s22, v161
	v_add_f16_e32 v38, v38, v39
	v_fma_f16 v39, v22, s1, -v122
	v_add_f16_e32 v160, v160, v162
	v_mul_f16_e32 v162, 0xbbdd, v65
	v_add_f16_e32 v38, v38, v39
	v_fma_f16 v39, v24, s16, -v123
	v_fma_f16 v163, v11, s27, v162
	v_add_f16_e32 v38, v38, v39
	v_fma_f16 v39, v23, s5, -v124
	v_add_f16_e32 v160, v160, v163
	v_mul_f16_e32 v163, 0xb461, v66
	v_add_f16_e32 v38, v38, v39
	v_fma_f16 v39, v25, s0, -v125
	v_fma_f16 v164, v12, s21, v163
	v_add_f16_e32 v38, v38, v39
	v_fma_f16 v39, v26, s11, -v126
	v_add_f16_e32 v160, v160, v164
	v_mul_f16_e32 v164, 0x39e9, v67
	v_add_f16_e32 v38, v38, v39
	v_fma_f16 v39, v9, s21, v127
	v_fma_f16 v165, v13, s7, v164
	v_add_f16_e32 v39, v2, v39
	v_fma_f16 v40, v10, s8, v128
	v_add_f16_e32 v160, v160, v165
	v_mul_f16_e32 v165, 0x3b76, v74
	v_add_f16_e32 v39, v39, v40
	v_fma_f16 v40, v11, s23, v129
	v_fma_f16 v166, v15, s20, v165
	v_add_f16_e32 v39, v39, v40
	v_fma_f16 v40, v12, s15, v130
	v_add_f16_e32 v160, v160, v166
	v_mul_f16_e32 v166, 0x2de8, v77
	v_add_f16_e32 v39, v39, v40
	v_fma_f16 v40, v13, s27, v131
	v_fma_f16 v167, v16, s25, v166
	v_add_f16_e32 v39, v39, v40
	v_fma_f16 v40, v15, s25, v132
	v_add_f16_e32 v160, v160, v167
	v_mul_f16_e32 v167, 0xbacd, v79
	v_add_f16_e32 v39, v39, v40
	v_fma_f16 v40, v16, s6, v133
	v_fma_f16 v168, v18, s8, v167
	v_add_f16_e32 v39, v39, v40
	v_fma_f16 v40, v18, s19, v134
	v_add_f16_e32 v160, v160, v168
	v_mul_f16_e32 v168, 0xbb29, v53
	v_add_f16_e32 v39, v39, v40
	v_fma_f16 v40, v19, s14, -v135
	v_fma_f16 v169, v19, s11, v168
	v_mul_f16_e32 v170, 0xba62, v81
	v_add_f16_e32 v40, v0, v40
	v_fma_f16 v41, v20, s1, -v136
	v_add_f16_e32 v169, v0, v169
	v_fma_f16 v171, v20, s10, v170
	v_add_f16_e32 v40, v40, v41
	v_fma_f16 v41, v21, s5, -v137
	v_add_f16_e32 v169, v169, v171
	v_mul_f16_e32 v171, 0x31e1, v83
	v_add_f16_e32 v40, v40, v41
	v_fma_f16 v41, v22, s11, -v138
	v_fma_f16 v172, v21, s0, v171
	v_add_f16_e32 v40, v40, v41
	v_fma_f16 v41, v24, s0, -v139
	v_add_f16_e32 v169, v169, v172
	v_mul_f16_e32 v172, 0x3bb2, v85
	v_add_f16_e32 v40, v40, v41
	v_fma_f16 v41, v23, s16, -v140
	;; [unrolled: 7-line block ×3, first 2 shown]
	v_fma_f16 v174, v24, s5, v173
	v_add_f16_e32 v40, v40, v41
	v_fma_f16 v41, v9, s17, v143
	v_add_f16_e32 v169, v169, v174
	v_mul_f16_e32 v174, 0xb5c8, v89
	v_add_f16_e32 v41, v2, v41
	v_fma_f16 v42, v10, s27, v144
	v_fma_f16 v175, v23, s4, v174
	v_add_f16_e32 v41, v41, v42
	v_fma_f16 v42, v11, s18, v145
	v_add_f16_e32 v169, v169, v175
	v_mul_f16_e32 v175, 0xbbf7, v91
	v_add_f16_e32 v41, v41, v42
	v_fma_f16 v42, v12, s20, v146
	;; [unrolled: 7-line block ×4, first 2 shown]
	v_fma_f16 v178, v9, s23, v177
	v_mul_f16_e32 v179, 0x2de8, v64
	v_add_f16_e32 v41, v41, v42
	v_fma_f16 v42, v19, s16, -v151
	v_add_f16_e32 v178, v2, v178
	v_fma_f16 v180, v10, s25, v179
	v_add_f16_e32 v42, v0, v42
	v_fma_f16 v43, v20, s0, -v152
	v_add_f16_e32 v178, v178, v180
	v_mul_f16_e32 v180, 0xb8d2, v65
	v_add_f16_e32 v42, v42, v43
	v_fma_f16 v43, v21, s14, -v153
	v_fma_f16 v181, v11, s22, v180
	v_add_f16_e32 v42, v42, v43
	v_fma_f16 v43, v22, s4, -v154
	v_add_f16_e32 v178, v178, v181
	v_mul_f16_e32 v181, 0xbbdd, v66
	v_add_f16_e32 v42, v42, v43
	v_fma_f16 v43, v24, s11, -v155
	;; [unrolled: 7-line block ×3, first 2 shown]
	v_fma_f16 v183, v13, s24, v182
	v_add_f16_e32 v42, v42, v43
	v_fma_f16 v43, v26, s5, -v158
	v_add_f16_e32 v178, v178, v183
	v_mul_f16_e32 v183, 0xb461, v74
	v_add_f16_e32 v42, v42, v43
	v_fma_f16 v43, v9, s15, v159
	v_fma_f16 v184, v15, s21, v183
	v_add_f16_e32 v43, v2, v43
	v_fma_f16 v44, v10, s19, v161
	v_add_f16_e32 v178, v178, v184
	v_mul_f16_e32 v184, 0x3722, v77
	v_add_f16_e32 v43, v43, v44
	v_fma_f16 v44, v11, s9, v162
	v_fma_f16 v185, v16, s15, v184
	v_add_f16_e32 v43, v43, v44
	v_fma_f16 v44, v12, s18, v163
	;; [unrolled: 7-line block ×3, first 2 shown]
	v_add_f16_e32 v178, v178, v186
	v_mul_f16_e32 v186, 0xb964, v53
	v_add_f16_e32 v43, v43, v44
	v_fma_f16 v44, v16, s17, v166
	v_fma_f16 v187, v19, s5, v186
	v_mul_f16_e32 v188, 0xbbf7, v81
	v_add_f16_e32 v43, v43, v44
	v_fma_f16 v44, v18, s24, v167
	v_add_f16_e32 v187, v0, v187
	v_fma_f16 v189, v20, s16, v188
	v_add_f16_e32 v43, v43, v44
	v_fma_f16 v44, v19, s11, -v168
	v_add_f16_e32 v187, v187, v189
	v_mul_f16_e32 v189, 0xba62, v83
	v_add_f16_e32 v44, v0, v44
	v_fma_f16 v45, v20, s10, -v170
	v_fma_f16 v190, v21, s10, v189
	v_add_f16_e32 v44, v44, v45
	v_fma_f16 v45, v21, s0, -v171
	v_add_f16_e32 v187, v187, v190
	v_mul_f16_e32 v190, 0xb1e1, v85
	v_add_f16_e32 v44, v44, v45
	v_fma_f16 v45, v22, s14, -v172
	;; [unrolled: 7-line block ×4, first 2 shown]
	v_fma_f16 v193, v23, s14, v192
	v_add_f16_e32 v44, v44, v45
	v_fma_f16 v45, v9, s7, v177
	v_add_f16_e32 v187, v187, v193
	v_mul_f16_e32 v193, 0x3b29, v91
	v_add_f16_e32 v45, v2, v45
	v_fma_f16 v46, v10, s17, v179
	v_fma_f16 v194, v25, s11, v193
	v_add_f16_e32 v45, v45, v46
	v_fma_f16 v46, v11, s19, v180
	v_add_f16_e32 v187, v187, v194
	v_mul_f16_e32 v194, 0x35c8, v93
	v_add_f16_e32 v45, v45, v46
	v_fma_f16 v46, v12, s27, v181
	v_fma_f16 v195, v26, s4, v194
	v_mul_f16_e32 v63, 0x3b76, v63
	v_add_f16_e32 v45, v45, v46
	v_fma_f16 v46, v13, s8, v182
	v_add_f16_e32 v187, v187, v195
	v_fma_f16 v195, v9, s20, v63
	v_mul_f16_e32 v64, 0x39e9, v64
	v_add_f16_e32 v45, v45, v46
	v_fma_f16 v46, v15, s18, v183
	v_fma_f16 v9, v9, s6, v63
	v_add_f16_e32 v195, v2, v195
	v_fma_f16 v196, v10, s23, v64
	v_mul_f16_e32 v65, 0x3722, v65
	v_add_f16_e32 v45, v45, v46
	v_fma_f16 v46, v16, s26, v184
	v_add_f16_e32 v2, v2, v9
	v_fma_f16 v9, v10, s7, v64
	;; [unrolled: 2-line block ×3, first 2 shown]
	v_mul_f16_e32 v66, 0x2de8, v66
	v_add_f16_e32 v45, v45, v46
	v_fma_f16 v46, v18, s20, v185
	v_add_f16_e32 v2, v2, v9
	v_fma_f16 v9, v11, s15, v65
	;; [unrolled: 2-line block ×3, first 2 shown]
	v_mul_f16_e32 v67, 0xb461, v67
	v_add_f16_e32 v45, v45, v46
	v_fma_f16 v46, v19, s5, -v186
	v_add_f16_e32 v2, v2, v9
	v_fma_f16 v9, v12, s17, v66
	v_add_f16_e32 v195, v195, v196
	v_fma_f16 v196, v13, s18, v67
	v_mul_f16_e32 v74, 0xb8d2, v74
	v_add_f16_e32 v46, v0, v46
	v_fma_f16 v47, v20, s16, -v188
	v_add_f16_e32 v2, v2, v9
	v_fma_f16 v9, v13, s21, v67
	v_add_f16_e32 v195, v195, v196
	v_fma_f16 v196, v15, s22, v74
	;; [unrolled: 7-line block ×5, first 2 shown]
	v_mul_f16_e32 v81, 0xb964, v81
	v_add_f16_e32 v46, v46, v47
	v_fma_f16 v47, v23, s14, -v192
	v_add_f16_e32 v13, v2, v9
	v_fma_f16 v2, v19, s4, -v53
	v_add_f16_e32 v196, v0, v196
	v_mul_f16_e32 v83, 0xbb29, v83
	v_add_f16_e32 v46, v46, v47
	v_fma_f16 v47, v25, s11, -v193
	v_add_f16_e32 v0, v0, v2
	v_fma_f16 v2, v20, s5, -v81
	v_fma_f16 v197, v20, s5, v81
	v_mul_f16_e32 v85, 0xbbf7, v85
	v_add_f16_e32 v46, v46, v47
	v_fma_f16 v47, v26, s4, -v194
	v_add_f16_e32 v0, v0, v2
	v_fma_f16 v2, v21, s11, -v83
	v_mad_u64_u32 v[9:10], s[4:5], s2, v6, 0
	v_mul_f16_e32 v87, 0xbbb2, v87
	v_add_f16_e32 v0, v0, v2
	v_fma_f16 v2, v22, s16, -v85
	v_mul_f16_e32 v89, 0xba62, v89
	v_add_f16_e32 v0, v0, v2
	v_fma_f16 v2, v24, s14, -v87
	v_add_f16_e32 v0, v0, v2
	v_fma_f16 v2, v23, s10, -v89
	v_add_f16_e32 v196, v196, v197
	v_fma_f16 v197, v21, s11, v83
	v_add_f16_e32 v2, v0, v2
	v_mov_b32_e32 v0, v10
	v_add_f16_e32 v196, v196, v197
	v_fma_f16 v197, v22, s16, v85
	v_mul_f16_e32 v91, 0xb836, v91
	v_mad_u64_u32 v[10:11], s[4:5], s3, v6, v[0:1]
	v_add_f16_e32 v196, v196, v197
	v_fma_f16 v197, v24, s14, v87
	v_mul_f16_e32 v93, 0xb1e1, v93
	v_fma_f16 v12, v25, s1, -v91
	v_add_f16_e32 v196, v196, v197
	v_fma_f16 v197, v23, s10, v89
	v_add_f16_e32 v0, v2, v12
	v_fma_f16 v2, v26, s0, -v93
	v_add_f16_e32 v196, v196, v197
	v_fma_f16 v197, v25, s1, v91
	v_add_f16_e32 v15, v0, v2
	v_mov_b32_e32 v0, s13
	v_add_co_u32_e32 v16, vcc, s12, v4
	v_add_u32_e32 v2, 0x55, v6
	v_add_f16_e32 v196, v196, v197
	v_fma_f16 v197, v26, s0, v93
	v_addc_co_u32_e32 v18, vcc, v0, v5, vcc
	v_lshlrev_b64 v[4:5], 2, v[9:10]
	v_mad_u64_u32 v[9:10], s[0:1], s2, v2, 0
	v_add_f16_e32 v34, v56, v34
	v_add_co_u32_e32 v4, vcc, v16, v4
	v_mov_b32_e32 v0, v10
	v_mad_u64_u32 v[10:11], s[0:1], s3, v2, v[0:1]
	v_add_u32_e32 v2, 0xaa, v6
	v_mad_u64_u32 v[11:12], s[0:1], s2, v2, 0
	v_addc_co_u32_e32 v5, vcc, v18, v5, vcc
	v_pack_b32_f16 v19, v34, v31
	v_mov_b32_e32 v0, v12
	global_store_dword v[4:5], v19, off
	v_lshlrev_b64 v[4:5], 2, v[9:10]
	v_mad_u64_u32 v[9:10], s[0:1], s3, v2, v[0:1]
	v_add_u32_e32 v2, 0xff, v6
	v_add_f16_e32 v196, v196, v197
	v_mov_b32_e32 v12, v9
	v_mad_u64_u32 v[9:10], s[0:1], s2, v2, 0
	v_add_co_u32_e32 v4, vcc, v16, v4
	v_addc_co_u32_e32 v5, vcc, v18, v5, vcc
	v_pack_b32_f16 v0, v196, v195
	global_store_dword v[4:5], v0, off
	v_mov_b32_e32 v0, v10
	v_lshlrev_b64 v[4:5], 2, v[11:12]
	v_mad_u64_u32 v[10:11], s[0:1], s3, v2, v[0:1]
	v_add_u32_e32 v2, 0x154, v6
	v_mad_u64_u32 v[11:12], s[0:1], s2, v2, 0
	v_add_co_u32_e32 v4, vcc, v16, v4
	v_addc_co_u32_e32 v5, vcc, v18, v5, vcc
	v_pack_b32_f16 v19, v187, v178
	v_mov_b32_e32 v0, v12
	global_store_dword v[4:5], v19, off
	v_lshlrev_b64 v[4:5], 2, v[9:10]
	v_mad_u64_u32 v[9:10], s[0:1], s3, v2, v[0:1]
	v_add_u32_e32 v2, 0x1a9, v6
	v_add_co_u32_e32 v4, vcc, v16, v4
	v_mov_b32_e32 v12, v9
	v_mad_u64_u32 v[9:10], s[0:1], s2, v2, 0
	v_addc_co_u32_e32 v5, vcc, v18, v5, vcc
	v_pack_b32_f16 v0, v169, v160
	global_store_dword v[4:5], v0, off
	v_mov_b32_e32 v0, v10
	v_lshlrev_b64 v[4:5], 2, v[11:12]
	v_mad_u64_u32 v[10:11], s[0:1], s3, v2, v[0:1]
	v_add_u32_e32 v2, 0x1fe, v6
	v_mad_u64_u32 v[11:12], s[0:1], s2, v2, 0
	v_add_co_u32_e32 v4, vcc, v16, v4
	v_addc_co_u32_e32 v5, vcc, v18, v5, vcc
	v_pack_b32_f16 v19, v30, v29
	v_mov_b32_e32 v0, v12
	global_store_dword v[4:5], v19, off
	v_lshlrev_b64 v[4:5], 2, v[9:10]
	v_mad_u64_u32 v[9:10], s[0:1], s3, v2, v[0:1]
	v_add_u32_e32 v2, 0x253, v6
	v_add_co_u32_e32 v4, vcc, v16, v4
	v_mov_b32_e32 v12, v9
	v_mad_u64_u32 v[9:10], s[0:1], s2, v2, 0
	v_addc_co_u32_e32 v5, vcc, v18, v5, vcc
	v_pack_b32_f16 v0, v28, v27
	global_store_dword v[4:5], v0, off
	v_mov_b32_e32 v0, v10
	v_lshlrev_b64 v[4:5], 2, v[11:12]
	v_mad_u64_u32 v[10:11], s[0:1], s3, v2, v[0:1]
	v_add_u32_e32 v2, 0x2a8, v6
	v_mad_u64_u32 v[11:12], s[0:1], s2, v2, 0
	v_add_co_u32_e32 v4, vcc, v16, v4
	v_addc_co_u32_e32 v5, vcc, v18, v5, vcc
	v_pack_b32_f16 v14, v17, v14
	v_mov_b32_e32 v0, v12
	global_store_dword v[4:5], v14, off
	v_lshlrev_b64 v[4:5], 2, v[9:10]
	v_mad_u64_u32 v[9:10], s[0:1], s3, v2, v[0:1]
	v_add_u32_e32 v2, 0x2fd, v6
	v_pack_b32_f16 v0, v8, v7
	v_mad_u64_u32 v[7:8], s[0:1], s2, v2, 0
	v_add_co_u32_e32 v4, vcc, v16, v4
	v_addc_co_u32_e32 v5, vcc, v18, v5, vcc
	global_store_dword v[4:5], v0, off
	v_mov_b32_e32 v0, v8
	v_mov_b32_e32 v12, v9
	v_pack_b32_f16 v3, v3, v1
	v_mad_u64_u32 v[0:1], s[0:1], s3, v2, v[0:1]
	v_add_u32_e32 v9, 0x352, v6
	v_mad_u64_u32 v[1:2], s[0:1], s2, v9, 0
	v_lshlrev_b64 v[4:5], 2, v[11:12]
	v_mov_b32_e32 v8, v0
	v_add_co_u32_e32 v4, vcc, v16, v4
	v_addc_co_u32_e32 v5, vcc, v18, v5, vcc
	v_mov_b32_e32 v0, v2
	global_store_dword v[4:5], v3, off
	v_lshlrev_b64 v[3:4], 2, v[7:8]
	v_mad_u64_u32 v[7:8], s[0:1], s3, v9, v[0:1]
	v_add_co_u32_e32 v2, vcc, v16, v3
	v_addc_co_u32_e32 v3, vcc, v18, v4, vcc
	v_pack_b32_f16 v0, v33, v32
	global_store_dword v[2:3], v0, off
	v_mov_b32_e32 v2, v7
	v_add_u32_e32 v4, 0x3a7, v6
	v_lshlrev_b64 v[0:1], 2, v[1:2]
	v_mad_u64_u32 v[2:3], s[0:1], s2, v4, 0
	v_add_u32_e32 v8, 0x3fc, v6
	v_add_co_u32_e32 v0, vcc, v16, v0
	v_mad_u64_u32 v[3:4], s[0:1], s3, v4, v[3:4]
	v_mad_u64_u32 v[4:5], s[0:1], s2, v8, 0
	v_addc_co_u32_e32 v1, vcc, v18, v1, vcc
	v_pack_b32_f16 v7, v36, v35
	global_store_dword v[0:1], v7, off
	v_lshlrev_b64 v[0:1], 2, v[2:3]
	v_mov_b32_e32 v2, v5
	v_mad_u64_u32 v[2:3], s[0:1], s3, v8, v[2:3]
	v_add_co_u32_e32 v0, vcc, v16, v0
	v_addc_co_u32_e32 v1, vcc, v18, v1, vcc
	v_pack_b32_f16 v3, v38, v37
	v_mov_b32_e32 v5, v2
	global_store_dword v[0:1], v3, off
	v_lshlrev_b64 v[0:1], 2, v[4:5]
	v_add_u32_e32 v4, 0x451, v6
	v_mad_u64_u32 v[2:3], s[0:1], s2, v4, 0
	v_add_u32_e32 v8, 0x4a6, v6
	v_add_co_u32_e32 v0, vcc, v16, v0
	v_mad_u64_u32 v[3:4], s[0:1], s3, v4, v[3:4]
	v_mad_u64_u32 v[4:5], s[0:1], s2, v8, 0
	v_addc_co_u32_e32 v1, vcc, v18, v1, vcc
	v_pack_b32_f16 v7, v40, v39
	global_store_dword v[0:1], v7, off
	v_lshlrev_b64 v[0:1], 2, v[2:3]
	v_mov_b32_e32 v2, v5
	v_mad_u64_u32 v[2:3], s[0:1], s3, v8, v[2:3]
	v_add_co_u32_e32 v0, vcc, v16, v0
	v_addc_co_u32_e32 v1, vcc, v18, v1, vcc
	v_pack_b32_f16 v3, v42, v41
	v_mov_b32_e32 v5, v2
	global_store_dword v[0:1], v3, off
	v_lshlrev_b64 v[0:1], 2, v[4:5]
	v_add_u32_e32 v4, 0x4fb, v6
	v_mad_u64_u32 v[2:3], s[0:1], s2, v4, 0
	v_add_u32_e32 v6, 0x550, v6
	v_add_co_u32_e32 v0, vcc, v16, v0
	v_mad_u64_u32 v[3:4], s[0:1], s3, v4, v[3:4]
	v_mad_u64_u32 v[4:5], s[0:1], s2, v6, 0
	v_addc_co_u32_e32 v1, vcc, v18, v1, vcc
	v_pack_b32_f16 v7, v44, v43
	global_store_dword v[0:1], v7, off
	v_lshlrev_b64 v[0:1], 2, v[2:3]
	v_mov_b32_e32 v2, v5
	v_mad_u64_u32 v[2:3], s[0:1], s3, v6, v[2:3]
	v_add_f16_e32 v46, v46, v47
	v_add_co_u32_e32 v0, vcc, v16, v0
	v_addc_co_u32_e32 v1, vcc, v18, v1, vcc
	v_pack_b32_f16 v3, v46, v45
	v_mov_b32_e32 v5, v2
	global_store_dword v[0:1], v3, off
	v_lshlrev_b64 v[0:1], 2, v[4:5]
	v_pack_b32_f16 v2, v15, v13
	v_add_co_u32_e32 v0, vcc, v16, v0
	v_addc_co_u32_e32 v1, vcc, v18, v1, vcc
	global_store_dword v[0:1], v2, off
.LBB0_23:
	s_endpgm
	.section	.rodata,"a",@progbits
	.p2align	6, 0x0
	.amdhsa_kernel fft_rtc_back_len1445_factors_17_5_17_wgs_85_tpt_85_halfLds_half_ip_CI_sbrr_dirReg
		.amdhsa_group_segment_fixed_size 0
		.amdhsa_private_segment_fixed_size 0
		.amdhsa_kernarg_size 88
		.amdhsa_user_sgpr_count 6
		.amdhsa_user_sgpr_private_segment_buffer 1
		.amdhsa_user_sgpr_dispatch_ptr 0
		.amdhsa_user_sgpr_queue_ptr 0
		.amdhsa_user_sgpr_kernarg_segment_ptr 1
		.amdhsa_user_sgpr_dispatch_id 0
		.amdhsa_user_sgpr_flat_scratch_init 0
		.amdhsa_user_sgpr_private_segment_size 0
		.amdhsa_uses_dynamic_stack 0
		.amdhsa_system_sgpr_private_segment_wavefront_offset 0
		.amdhsa_system_sgpr_workgroup_id_x 1
		.amdhsa_system_sgpr_workgroup_id_y 0
		.amdhsa_system_sgpr_workgroup_id_z 0
		.amdhsa_system_sgpr_workgroup_info 0
		.amdhsa_system_vgpr_workitem_id 0
		.amdhsa_next_free_vgpr 198
		.amdhsa_next_free_sgpr 63
		.amdhsa_reserve_vcc 1
		.amdhsa_reserve_flat_scratch 0
		.amdhsa_float_round_mode_32 0
		.amdhsa_float_round_mode_16_64 0
		.amdhsa_float_denorm_mode_32 3
		.amdhsa_float_denorm_mode_16_64 3
		.amdhsa_dx10_clamp 1
		.amdhsa_ieee_mode 1
		.amdhsa_fp16_overflow 0
		.amdhsa_exception_fp_ieee_invalid_op 0
		.amdhsa_exception_fp_denorm_src 0
		.amdhsa_exception_fp_ieee_div_zero 0
		.amdhsa_exception_fp_ieee_overflow 0
		.amdhsa_exception_fp_ieee_underflow 0
		.amdhsa_exception_fp_ieee_inexact 0
		.amdhsa_exception_int_div_zero 0
	.end_amdhsa_kernel
	.text
.Lfunc_end0:
	.size	fft_rtc_back_len1445_factors_17_5_17_wgs_85_tpt_85_halfLds_half_ip_CI_sbrr_dirReg, .Lfunc_end0-fft_rtc_back_len1445_factors_17_5_17_wgs_85_tpt_85_halfLds_half_ip_CI_sbrr_dirReg
                                        ; -- End function
	.section	.AMDGPU.csdata,"",@progbits
; Kernel info:
; codeLenInByte = 15392
; NumSgprs: 67
; NumVgprs: 198
; ScratchSize: 0
; MemoryBound: 0
; FloatMode: 240
; IeeeMode: 1
; LDSByteSize: 0 bytes/workgroup (compile time only)
; SGPRBlocks: 8
; VGPRBlocks: 49
; NumSGPRsForWavesPerEU: 67
; NumVGPRsForWavesPerEU: 198
; Occupancy: 1
; WaveLimiterHint : 1
; COMPUTE_PGM_RSRC2:SCRATCH_EN: 0
; COMPUTE_PGM_RSRC2:USER_SGPR: 6
; COMPUTE_PGM_RSRC2:TRAP_HANDLER: 0
; COMPUTE_PGM_RSRC2:TGID_X_EN: 1
; COMPUTE_PGM_RSRC2:TGID_Y_EN: 0
; COMPUTE_PGM_RSRC2:TGID_Z_EN: 0
; COMPUTE_PGM_RSRC2:TIDIG_COMP_CNT: 0
	.type	__hip_cuid_d2c9b7623b13d832,@object ; @__hip_cuid_d2c9b7623b13d832
	.section	.bss,"aw",@nobits
	.globl	__hip_cuid_d2c9b7623b13d832
__hip_cuid_d2c9b7623b13d832:
	.byte	0                               ; 0x0
	.size	__hip_cuid_d2c9b7623b13d832, 1

	.ident	"AMD clang version 19.0.0git (https://github.com/RadeonOpenCompute/llvm-project roc-6.4.0 25133 c7fe45cf4b819c5991fe208aaa96edf142730f1d)"
	.section	".note.GNU-stack","",@progbits
	.addrsig
	.addrsig_sym __hip_cuid_d2c9b7623b13d832
	.amdgpu_metadata
---
amdhsa.kernels:
  - .args:
      - .actual_access:  read_only
        .address_space:  global
        .offset:         0
        .size:           8
        .value_kind:     global_buffer
      - .offset:         8
        .size:           8
        .value_kind:     by_value
      - .actual_access:  read_only
        .address_space:  global
        .offset:         16
        .size:           8
        .value_kind:     global_buffer
      - .actual_access:  read_only
        .address_space:  global
        .offset:         24
        .size:           8
        .value_kind:     global_buffer
      - .offset:         32
        .size:           8
        .value_kind:     by_value
      - .actual_access:  read_only
        .address_space:  global
        .offset:         40
        .size:           8
        .value_kind:     global_buffer
      - .actual_access:  read_only
        .address_space:  global
        .offset:         48
        .size:           8
        .value_kind:     global_buffer
      - .offset:         56
        .size:           4
        .value_kind:     by_value
      - .actual_access:  read_only
        .address_space:  global
        .offset:         64
        .size:           8
        .value_kind:     global_buffer
      - .actual_access:  read_only
        .address_space:  global
        .offset:         72
        .size:           8
        .value_kind:     global_buffer
      - .address_space:  global
        .offset:         80
        .size:           8
        .value_kind:     global_buffer
    .group_segment_fixed_size: 0
    .kernarg_segment_align: 8
    .kernarg_segment_size: 88
    .language:       OpenCL C
    .language_version:
      - 2
      - 0
    .max_flat_workgroup_size: 85
    .name:           fft_rtc_back_len1445_factors_17_5_17_wgs_85_tpt_85_halfLds_half_ip_CI_sbrr_dirReg
    .private_segment_fixed_size: 0
    .sgpr_count:     67
    .sgpr_spill_count: 0
    .symbol:         fft_rtc_back_len1445_factors_17_5_17_wgs_85_tpt_85_halfLds_half_ip_CI_sbrr_dirReg.kd
    .uniform_work_group_size: 1
    .uses_dynamic_stack: false
    .vgpr_count:     198
    .vgpr_spill_count: 0
    .wavefront_size: 64
amdhsa.target:   amdgcn-amd-amdhsa--gfx906
amdhsa.version:
  - 1
  - 2
...

	.end_amdgpu_metadata
